;; amdgpu-corpus repo=ROCm/rocFFT kind=compiled arch=gfx906 opt=O3
	.text
	.amdgcn_target "amdgcn-amd-amdhsa--gfx906"
	.amdhsa_code_object_version 6
	.protected	fft_rtc_back_len4050_factors_10_5_3_3_3_3_wgs_135_tpt_135_halfLds_dp_op_CI_CI_sbrr_dirReg ; -- Begin function fft_rtc_back_len4050_factors_10_5_3_3_3_3_wgs_135_tpt_135_halfLds_dp_op_CI_CI_sbrr_dirReg
	.globl	fft_rtc_back_len4050_factors_10_5_3_3_3_3_wgs_135_tpt_135_halfLds_dp_op_CI_CI_sbrr_dirReg
	.p2align	8
	.type	fft_rtc_back_len4050_factors_10_5_3_3_3_3_wgs_135_tpt_135_halfLds_dp_op_CI_CI_sbrr_dirReg,@function
fft_rtc_back_len4050_factors_10_5_3_3_3_3_wgs_135_tpt_135_halfLds_dp_op_CI_CI_sbrr_dirReg: ; @fft_rtc_back_len4050_factors_10_5_3_3_3_3_wgs_135_tpt_135_halfLds_dp_op_CI_CI_sbrr_dirReg
; %bb.0:
	s_load_dwordx4 s[16:19], s[4:5], 0x18
	s_load_dwordx4 s[12:15], s[4:5], 0x0
	;; [unrolled: 1-line block ×3, first 2 shown]
	v_mul_u32_u24_e32 v1, 0x1e6, v0
	v_add_u32_sdwa v6, s6, v1 dst_sel:DWORD dst_unused:UNUSED_PAD src0_sel:DWORD src1_sel:WORD_1
	s_waitcnt lgkmcnt(0)
	s_load_dwordx2 s[20:21], s[16:17], 0x0
	s_load_dwordx2 s[2:3], s[18:19], 0x0
	v_cmp_lt_u64_e64 s[0:1], s[14:15], 2
	v_mov_b32_e32 v1, 0
	v_mov_b32_e32 v4, 0
	;; [unrolled: 1-line block ×3, first 2 shown]
	s_and_b64 vcc, exec, s[0:1]
	v_mov_b32_e32 v5, 0
	s_cbranch_vccnz .LBB0_8
; %bb.1:
	s_load_dwordx2 s[0:1], s[4:5], 0x10
	s_add_u32 s6, s18, 8
	s_addc_u32 s7, s19, 0
	s_add_u32 s22, s16, 8
	v_mov_b32_e32 v4, 0
	s_addc_u32 s23, s17, 0
	v_mov_b32_e32 v5, 0
	s_waitcnt lgkmcnt(0)
	s_add_u32 s24, s0, 8
	v_mov_b32_e32 v121, v5
	s_addc_u32 s25, s1, 0
	s_mov_b64 s[26:27], 1
	v_mov_b32_e32 v120, v4
.LBB0_2:                                ; =>This Inner Loop Header: Depth=1
	s_load_dwordx2 s[28:29], s[24:25], 0x0
                                        ; implicit-def: $vgpr122_vgpr123
	s_waitcnt lgkmcnt(0)
	v_or_b32_e32 v2, s29, v7
	v_cmp_ne_u64_e32 vcc, 0, v[1:2]
	s_and_saveexec_b64 s[0:1], vcc
	s_xor_b64 s[30:31], exec, s[0:1]
	s_cbranch_execz .LBB0_4
; %bb.3:                                ;   in Loop: Header=BB0_2 Depth=1
	v_cvt_f32_u32_e32 v2, s28
	v_cvt_f32_u32_e32 v3, s29
	s_sub_u32 s0, 0, s28
	s_subb_u32 s1, 0, s29
	v_mac_f32_e32 v2, 0x4f800000, v3
	v_rcp_f32_e32 v2, v2
	v_mul_f32_e32 v2, 0x5f7ffffc, v2
	v_mul_f32_e32 v3, 0x2f800000, v2
	v_trunc_f32_e32 v3, v3
	v_mac_f32_e32 v2, 0xcf800000, v3
	v_cvt_u32_f32_e32 v3, v3
	v_cvt_u32_f32_e32 v2, v2
	v_mul_lo_u32 v8, s0, v3
	v_mul_hi_u32 v9, s0, v2
	v_mul_lo_u32 v11, s1, v2
	v_mul_lo_u32 v10, s0, v2
	v_add_u32_e32 v8, v9, v8
	v_add_u32_e32 v8, v8, v11
	v_mul_hi_u32 v9, v2, v10
	v_mul_lo_u32 v11, v2, v8
	v_mul_hi_u32 v13, v2, v8
	v_mul_hi_u32 v12, v3, v10
	v_mul_lo_u32 v10, v3, v10
	v_mul_hi_u32 v14, v3, v8
	v_add_co_u32_e32 v9, vcc, v9, v11
	v_addc_co_u32_e32 v11, vcc, 0, v13, vcc
	v_mul_lo_u32 v8, v3, v8
	v_add_co_u32_e32 v9, vcc, v9, v10
	v_addc_co_u32_e32 v9, vcc, v11, v12, vcc
	v_addc_co_u32_e32 v10, vcc, 0, v14, vcc
	v_add_co_u32_e32 v8, vcc, v9, v8
	v_addc_co_u32_e32 v9, vcc, 0, v10, vcc
	v_add_co_u32_e32 v2, vcc, v2, v8
	v_addc_co_u32_e32 v3, vcc, v3, v9, vcc
	v_mul_lo_u32 v8, s0, v3
	v_mul_hi_u32 v9, s0, v2
	v_mul_lo_u32 v10, s1, v2
	v_mul_lo_u32 v11, s0, v2
	v_add_u32_e32 v8, v9, v8
	v_add_u32_e32 v8, v8, v10
	v_mul_lo_u32 v12, v2, v8
	v_mul_hi_u32 v13, v2, v11
	v_mul_hi_u32 v14, v2, v8
	;; [unrolled: 1-line block ×3, first 2 shown]
	v_mul_lo_u32 v11, v3, v11
	v_mul_hi_u32 v9, v3, v8
	v_add_co_u32_e32 v12, vcc, v13, v12
	v_addc_co_u32_e32 v13, vcc, 0, v14, vcc
	v_mul_lo_u32 v8, v3, v8
	v_add_co_u32_e32 v11, vcc, v12, v11
	v_addc_co_u32_e32 v10, vcc, v13, v10, vcc
	v_addc_co_u32_e32 v9, vcc, 0, v9, vcc
	v_add_co_u32_e32 v8, vcc, v10, v8
	v_addc_co_u32_e32 v9, vcc, 0, v9, vcc
	v_add_co_u32_e32 v8, vcc, v2, v8
	v_addc_co_u32_e32 v9, vcc, v3, v9, vcc
	v_mad_u64_u32 v[2:3], s[0:1], v6, v9, 0
	v_mul_hi_u32 v10, v6, v8
	v_add_co_u32_e32 v10, vcc, v10, v2
	v_addc_co_u32_e32 v11, vcc, 0, v3, vcc
	v_mad_u64_u32 v[2:3], s[0:1], v7, v8, 0
	v_mad_u64_u32 v[8:9], s[0:1], v7, v9, 0
	v_add_co_u32_e32 v2, vcc, v10, v2
	v_addc_co_u32_e32 v2, vcc, v11, v3, vcc
	v_addc_co_u32_e32 v3, vcc, 0, v9, vcc
	v_add_co_u32_e32 v8, vcc, v2, v8
	v_addc_co_u32_e32 v9, vcc, 0, v3, vcc
	v_mul_lo_u32 v10, s29, v8
	v_mul_lo_u32 v11, s28, v9
	v_mad_u64_u32 v[2:3], s[0:1], s28, v8, 0
	v_add3_u32 v3, v3, v11, v10
	v_sub_u32_e32 v10, v7, v3
	v_mov_b32_e32 v11, s29
	v_sub_co_u32_e32 v2, vcc, v6, v2
	v_subb_co_u32_e64 v10, s[0:1], v10, v11, vcc
	v_subrev_co_u32_e64 v11, s[0:1], s28, v2
	v_subbrev_co_u32_e64 v10, s[0:1], 0, v10, s[0:1]
	v_cmp_le_u32_e64 s[0:1], s29, v10
	v_cndmask_b32_e64 v12, 0, -1, s[0:1]
	v_cmp_le_u32_e64 s[0:1], s28, v11
	v_cndmask_b32_e64 v11, 0, -1, s[0:1]
	v_cmp_eq_u32_e64 s[0:1], s29, v10
	v_cndmask_b32_e64 v10, v12, v11, s[0:1]
	v_add_co_u32_e64 v11, s[0:1], 2, v8
	v_addc_co_u32_e64 v12, s[0:1], 0, v9, s[0:1]
	v_add_co_u32_e64 v13, s[0:1], 1, v8
	v_addc_co_u32_e64 v14, s[0:1], 0, v9, s[0:1]
	v_subb_co_u32_e32 v3, vcc, v7, v3, vcc
	v_cmp_ne_u32_e64 s[0:1], 0, v10
	v_cmp_le_u32_e32 vcc, s29, v3
	v_cndmask_b32_e64 v10, v14, v12, s[0:1]
	v_cndmask_b32_e64 v12, 0, -1, vcc
	v_cmp_le_u32_e32 vcc, s28, v2
	v_cndmask_b32_e64 v2, 0, -1, vcc
	v_cmp_eq_u32_e32 vcc, s29, v3
	v_cndmask_b32_e32 v2, v12, v2, vcc
	v_cmp_ne_u32_e32 vcc, 0, v2
	v_cndmask_b32_e64 v2, v13, v11, s[0:1]
	v_cndmask_b32_e32 v123, v9, v10, vcc
	v_cndmask_b32_e32 v122, v8, v2, vcc
.LBB0_4:                                ;   in Loop: Header=BB0_2 Depth=1
	s_andn2_saveexec_b64 s[0:1], s[30:31]
	s_cbranch_execz .LBB0_6
; %bb.5:                                ;   in Loop: Header=BB0_2 Depth=1
	v_cvt_f32_u32_e32 v2, s28
	s_sub_i32 s30, 0, s28
	v_mov_b32_e32 v123, v1
	v_rcp_iflag_f32_e32 v2, v2
	v_mul_f32_e32 v2, 0x4f7ffffe, v2
	v_cvt_u32_f32_e32 v2, v2
	v_mul_lo_u32 v3, s30, v2
	v_mul_hi_u32 v3, v2, v3
	v_add_u32_e32 v2, v2, v3
	v_mul_hi_u32 v2, v6, v2
	v_mul_lo_u32 v3, v2, s28
	v_add_u32_e32 v8, 1, v2
	v_sub_u32_e32 v3, v6, v3
	v_subrev_u32_e32 v9, s28, v3
	v_cmp_le_u32_e32 vcc, s28, v3
	v_cndmask_b32_e32 v3, v3, v9, vcc
	v_cndmask_b32_e32 v2, v2, v8, vcc
	v_add_u32_e32 v8, 1, v2
	v_cmp_le_u32_e32 vcc, s28, v3
	v_cndmask_b32_e32 v122, v2, v8, vcc
.LBB0_6:                                ;   in Loop: Header=BB0_2 Depth=1
	s_or_b64 exec, exec, s[0:1]
	v_mul_lo_u32 v8, v123, s28
	v_mul_lo_u32 v9, v122, s29
	v_mad_u64_u32 v[2:3], s[0:1], v122, s28, 0
	s_load_dwordx2 s[0:1], s[22:23], 0x0
	s_load_dwordx2 s[28:29], s[6:7], 0x0
	v_add3_u32 v3, v3, v9, v8
	v_sub_co_u32_e32 v2, vcc, v6, v2
	v_subb_co_u32_e32 v3, vcc, v7, v3, vcc
	s_waitcnt lgkmcnt(0)
	v_mul_lo_u32 v6, s0, v3
	v_mul_lo_u32 v7, s1, v2
	v_mad_u64_u32 v[4:5], s[0:1], s0, v2, v[4:5]
	v_mul_lo_u32 v3, s28, v3
	v_mul_lo_u32 v8, s29, v2
	v_mad_u64_u32 v[120:121], s[0:1], s28, v2, v[120:121]
	s_add_u32 s26, s26, 1
	s_addc_u32 s27, s27, 0
	s_add_u32 s6, s6, 8
	v_add3_u32 v121, v8, v121, v3
	s_addc_u32 s7, s7, 0
	v_mov_b32_e32 v2, s14
	s_add_u32 s22, s22, 8
	v_mov_b32_e32 v3, s15
	s_addc_u32 s23, s23, 0
	v_cmp_ge_u64_e32 vcc, s[26:27], v[2:3]
	s_add_u32 s24, s24, 8
	v_add3_u32 v5, v7, v5, v6
	s_addc_u32 s25, s25, 0
	s_cbranch_vccnz .LBB0_9
; %bb.7:                                ;   in Loop: Header=BB0_2 Depth=1
	v_mov_b32_e32 v6, v122
	v_mov_b32_e32 v7, v123
	s_branch .LBB0_2
.LBB0_8:
	v_mov_b32_e32 v121, v5
	v_mov_b32_e32 v123, v7
	;; [unrolled: 1-line block ×4, first 2 shown]
.LBB0_9:
	s_load_dwordx2 s[0:1], s[4:5], 0x28
	s_lshl_b64 s[14:15], s[14:15], 3
	s_add_u32 s4, s18, s14
	s_addc_u32 s5, s19, s15
                                        ; implicit-def: $vgpr124
                                        ; implicit-def: $vgpr129
                                        ; implicit-def: $vgpr132
                                        ; implicit-def: $vgpr126
                                        ; implicit-def: $vgpr125
                                        ; implicit-def: $vgpr127
                                        ; implicit-def: $vgpr131
                                        ; implicit-def: $vgpr130
                                        ; implicit-def: $vgpr133
                                        ; implicit-def: $vgpr128
	s_waitcnt lgkmcnt(0)
	v_cmp_gt_u64_e32 vcc, s[0:1], v[122:123]
	v_cmp_le_u64_e64 s[0:1], s[0:1], v[122:123]
	s_and_saveexec_b64 s[6:7], s[0:1]
	s_xor_b64 s[0:1], exec, s[6:7]
	s_cbranch_execz .LBB0_11
; %bb.10:
	s_mov_b32 s6, 0x1e573ad
	v_mul_hi_u32 v1, v0, s6
                                        ; implicit-def: $vgpr4_vgpr5
	v_mul_u32_u24_e32 v1, 0x87, v1
	v_sub_u32_e32 v124, v0, v1
	v_add_u32_e32 v129, 0x87, v124
	v_add_u32_e32 v132, 0x10e, v124
	;; [unrolled: 1-line block ×9, first 2 shown]
                                        ; implicit-def: $vgpr0
.LBB0_11:
	s_or_saveexec_b64 s[6:7], s[0:1]
                                        ; implicit-def: $vgpr2_vgpr3
                                        ; implicit-def: $vgpr34_vgpr35
                                        ; implicit-def: $vgpr6_vgpr7
                                        ; implicit-def: $vgpr30_vgpr31
                                        ; implicit-def: $vgpr10_vgpr11
                                        ; implicit-def: $vgpr26_vgpr27
                                        ; implicit-def: $vgpr14_vgpr15
                                        ; implicit-def: $vgpr22_vgpr23
                                        ; implicit-def: $vgpr18_vgpr19
                                        ; implicit-def: $vgpr38_vgpr39
                                        ; implicit-def: $vgpr46_vgpr47
                                        ; implicit-def: $vgpr98_vgpr99
                                        ; implicit-def: $vgpr62_vgpr63
                                        ; implicit-def: $vgpr102_vgpr103
                                        ; implicit-def: $vgpr74_vgpr75
                                        ; implicit-def: $vgpr106_vgpr107
                                        ; implicit-def: $vgpr70_vgpr71
                                        ; implicit-def: $vgpr94_vgpr95
                                        ; implicit-def: $vgpr66_vgpr67
                                        ; implicit-def: $vgpr110_vgpr111
                                        ; implicit-def: $vgpr42_vgpr43
                                        ; implicit-def: $vgpr82_vgpr83
                                        ; implicit-def: $vgpr50_vgpr51
                                        ; implicit-def: $vgpr86_vgpr87
                                        ; implicit-def: $vgpr54_vgpr55
                                        ; implicit-def: $vgpr114_vgpr115
                                        ; implicit-def: $vgpr78_vgpr79
                                        ; implicit-def: $vgpr90_vgpr91
                                        ; implicit-def: $vgpr58_vgpr59
                                        ; implicit-def: $vgpr118_vgpr119
	s_xor_b64 exec, exec, s[6:7]
	s_cbranch_execz .LBB0_13
; %bb.12:
	s_add_u32 s0, s16, s14
	s_mov_b32 s14, 0x1e573ad
	s_addc_u32 s1, s17, s15
	v_mul_hi_u32 v1, v0, s14
	s_load_dwordx2 s[0:1], s[0:1], 0x0
	v_mul_u32_u24_e32 v1, 0x87, v1
	v_sub_u32_e32 v124, v0, v1
	s_waitcnt lgkmcnt(0)
	v_mul_lo_u32 v8, s1, v122
	v_mad_u64_u32 v[0:1], s[14:15], s20, v124, 0
	v_mul_lo_u32 v9, s0, v123
	v_mad_u64_u32 v[2:3], s[0:1], s0, v122, 0
	v_add_u32_e32 v125, 0x195, v124
	v_add_u32_e32 v126, 0x32a, v124
	v_mad_u64_u32 v[6:7], s[0:1], s21, v124, v[1:2]
	v_add3_u32 v3, v3, v9, v8
	v_lshlrev_b64 v[2:3], 4, v[2:3]
	v_mov_b32_e32 v1, v6
	v_mov_b32_e32 v6, s9
	v_add_co_u32_e64 v7, s[0:1], s8, v2
	v_addc_co_u32_e64 v6, s[0:1], v6, v3, s[0:1]
	v_lshlrev_b64 v[2:3], 4, v[4:5]
	v_mad_u64_u32 v[4:5], s[0:1], s20, v125, 0
	v_add_co_u32_e64 v18, s[0:1], v7, v2
	v_mov_b32_e32 v2, v5
	v_addc_co_u32_e64 v19, s[0:1], v6, v3, s[0:1]
	v_mad_u64_u32 v[2:3], s[0:1], s21, v125, v[2:3]
	v_mad_u64_u32 v[6:7], s[0:1], s20, v126, 0
	v_lshlrev_b64 v[0:1], 4, v[0:1]
	v_mov_b32_e32 v5, v2
	v_add_co_u32_e64 v0, s[0:1], v18, v0
	v_lshlrev_b64 v[2:3], 4, v[4:5]
	v_mov_b32_e32 v4, v7
	v_addc_co_u32_e64 v1, s[0:1], v19, v1, s[0:1]
	v_mad_u64_u32 v[4:5], s[0:1], s21, v126, v[4:5]
	v_add_u32_e32 v128, 0x4bf, v124
	v_mad_u64_u32 v[8:9], s[0:1], s20, v128, 0
	v_mov_b32_e32 v7, v4
	v_add_co_u32_e64 v2, s[0:1], v18, v2
	v_lshlrev_b64 v[4:5], 4, v[6:7]
	v_mov_b32_e32 v6, v9
	v_addc_co_u32_e64 v3, s[0:1], v19, v3, s[0:1]
	v_mad_u64_u32 v[6:7], s[0:1], s21, v128, v[6:7]
	v_add_u32_e32 v12, 0x654, v124
	v_mad_u64_u32 v[10:11], s[0:1], s20, v12, 0
	;; [unrolled: 8-line block ×18, first 2 shown]
	v_mov_b32_e32 v43, v40
	v_add_co_u32_e64 v38, s[0:1], v18, v38
	v_lshlrev_b64 v[40:41], 4, v[42:43]
	v_mov_b32_e32 v42, v45
	v_add_u32_e32 v131, 0x2a3, v124
	v_addc_co_u32_e64 v39, s[0:1], v19, v39, s[0:1]
	v_mad_u64_u32 v[42:43], s[0:1], s21, v132, v[42:43]
	v_mad_u64_u32 v[46:47], s[0:1], s20, v131, 0
	v_add_co_u32_e64 v134, s[0:1], v18, v40
	v_mov_b32_e32 v45, v42
	v_mov_b32_e32 v42, v47
	v_addc_co_u32_e64 v135, s[0:1], v19, v41, s[0:1]
	v_mad_u64_u32 v[42:43], s[0:1], s21, v131, v[42:43]
	v_add_u32_e32 v133, 0x438, v124
	v_lshlrev_b64 v[40:41], 4, v[44:45]
	v_mad_u64_u32 v[43:44], s[0:1], s20, v133, 0
	v_add_co_u32_e64 v136, s[0:1], v18, v40
	v_mov_b32_e32 v47, v42
	v_mov_b32_e32 v42, v44
	v_addc_co_u32_e64 v137, s[0:1], v19, v41, s[0:1]
	v_lshlrev_b64 v[40:41], 4, v[46:47]
	v_mad_u64_u32 v[44:45], s[0:1], s21, v133, v[42:43]
	v_add_u32_e32 v47, 0x5cd, v124
	v_mad_u64_u32 v[45:46], s[0:1], s20, v47, 0
	v_add_co_u32_e64 v138, s[0:1], v18, v40
	v_mov_b32_e32 v42, v46
	v_addc_co_u32_e64 v139, s[0:1], v19, v41, s[0:1]
	v_lshlrev_b64 v[40:41], 4, v[43:44]
	v_mad_u64_u32 v[42:43], s[0:1], s21, v47, v[42:43]
	v_add_u32_e32 v47, 0x762, v124
	v_mad_u64_u32 v[43:44], s[0:1], s20, v47, 0
	v_add_co_u32_e64 v140, s[0:1], v18, v40
	v_mov_b32_e32 v46, v42
	v_mov_b32_e32 v42, v44
	v_addc_co_u32_e64 v141, s[0:1], v19, v41, s[0:1]
	v_lshlrev_b64 v[40:41], 4, v[45:46]
	v_mad_u64_u32 v[44:45], s[0:1], s21, v47, v[42:43]
	v_add_u32_e32 v47, 0x8f7, v124
	v_mad_u64_u32 v[45:46], s[0:1], s20, v47, 0
	v_add_co_u32_e64 v142, s[0:1], v18, v40
	v_mov_b32_e32 v42, v46
	v_addc_co_u32_e64 v143, s[0:1], v19, v41, s[0:1]
	v_lshlrev_b64 v[40:41], 4, v[43:44]
	v_mad_u64_u32 v[42:43], s[0:1], s21, v47, v[42:43]
	v_add_u32_e32 v47, 0xa8c, v124
	;; [unrolled: 15-line block ×3, first 2 shown]
	v_mad_u64_u32 v[43:44], s[0:1], s20, v47, 0
	v_add_co_u32_e64 v148, s[0:1], v18, v40
	v_mov_b32_e32 v46, v42
	v_mov_b32_e32 v42, v44
	v_addc_co_u32_e64 v149, s[0:1], v19, v41, s[0:1]
	v_lshlrev_b64 v[40:41], 4, v[45:46]
	v_mad_u64_u32 v[44:45], s[0:1], s21, v47, v[42:43]
	v_add_u32_e32 v47, 0xf4b, v124
	v_mad_u64_u32 v[45:46], s[0:1], s20, v47, 0
	v_add_co_u32_e64 v150, s[0:1], v18, v40
	v_mov_b32_e32 v42, v46
	v_addc_co_u32_e64 v151, s[0:1], v19, v41, s[0:1]
	v_lshlrev_b64 v[40:41], 4, v[43:44]
	v_mad_u64_u32 v[42:43], s[0:1], s21, v47, v[42:43]
	v_add_co_u32_e64 v152, s[0:1], v18, v40
	v_mov_b32_e32 v46, v42
	global_load_dwordx4 v[116:119], v[0:1], off
	global_load_dwordx4 v[56:59], v[2:3], off
	v_lshlrev_b64 v[0:1], 4, v[45:46]
	v_addc_co_u32_e64 v153, s[0:1], v19, v41, s[0:1]
	v_add_co_u32_e64 v0, s[0:1], v18, v0
	v_addc_co_u32_e64 v1, s[0:1], v19, v1, s[0:1]
	global_load_dwordx4 v[88:91], v[4:5], off
	global_load_dwordx4 v[76:79], v[6:7], off
	;; [unrolled: 1-line block ×12, first 2 shown]
                                        ; kill: killed $vgpr4 killed $vgpr5
                                        ; kill: killed $vgpr12 killed $vgpr13
                                        ; kill: killed $vgpr26 killed $vgpr27
                                        ; kill: killed $vgpr14 killed $vgpr15
                                        ; kill: killed $vgpr28 killed $vgpr29
                                        ; kill: killed $vgpr16 killed $vgpr17
                                        ; kill: killed $vgpr24 killed $vgpr25
                                        ; kill: killed $vgpr20 killed $vgpr21
                                        ; kill: killed $vgpr6 killed $vgpr7
                                        ; kill: killed $vgpr22 killed $vgpr23
                                        ; kill: killed $vgpr8 killed $vgpr9
                                        ; kill: killed $vgpr10 killed $vgpr11
	global_load_dwordx4 v[104:107], v[30:31], off
	global_load_dwordx4 v[72:75], v[32:33], off
	;; [unrolled: 1-line block ×6, first 2 shown]
                                        ; kill: killed $vgpr134 killed $vgpr135
                                        ; kill: killed $vgpr30 killed $vgpr31
                                        ; kill: killed $vgpr32 killed $vgpr33
                                        ; kill: killed $vgpr34 killed $vgpr35
                                        ; kill: killed $vgpr36 killed $vgpr37
                                        ; kill: killed $vgpr38 killed $vgpr39
	s_nop 0
	global_load_dwordx4 v[36:39], v[136:137], off
	global_load_dwordx4 v[16:19], v[138:139], off
	;; [unrolled: 1-line block ×3, first 2 shown]
                                        ; kill: killed $vgpr140 killed $vgpr141
                                        ; kill: killed $vgpr138 killed $vgpr139
                                        ; kill: killed $vgpr136 killed $vgpr137
	global_load_dwordx4 v[12:15], v[142:143], off
	global_load_dwordx4 v[24:27], v[144:145], off
                                        ; kill: killed $vgpr142 killed $vgpr143
                                        ; kill: killed $vgpr144 killed $vgpr145
	global_load_dwordx4 v[8:11], v[146:147], off
	global_load_dwordx4 v[28:31], v[148:149], off
	;; [unrolled: 1-line block ×4, first 2 shown]
	s_nop 0
	global_load_dwordx4 v[0:3], v[0:1], off
.LBB0_13:
	s_or_b64 exec, exec, s[6:7]
	s_waitcnt vmcnt(23)
	v_add_f64 v[136:137], v[84:85], v[112:113]
	v_add_f64 v[134:135], v[88:89], v[116:117]
	s_waitcnt vmcnt(21)
	v_add_f64 v[138:139], v[90:91], -v[82:83]
	v_add_f64 v[146:147], v[80:81], v[88:89]
	s_mov_b32 s6, 0x134454ff
	s_mov_b32 s7, 0xbfee6f0e
	v_add_f64 v[140:141], v[114:115], -v[86:87]
	v_add_f64 v[142:143], v[88:89], -v[112:113]
	v_fma_f64 v[136:137], v[136:137], -0.5, v[116:117]
	v_add_f64 v[134:135], v[112:113], v[134:135]
	v_add_f64 v[144:145], v[80:81], -v[84:85]
	v_fma_f64 v[116:117], v[146:147], -0.5, v[116:117]
	s_mov_b32 s0, 0x4755a5e
	s_mov_b32 s1, 0xbfe2cf23
	;; [unrolled: 1-line block ×4, first 2 shown]
	v_fma_f64 v[148:149], v[138:139], s[6:7], v[136:137]
	v_add_f64 v[134:135], v[84:85], v[134:135]
	v_fma_f64 v[136:137], v[138:139], s[14:15], v[136:137]
	v_add_f64 v[142:143], v[144:145], v[142:143]
	v_add_f64 v[146:147], v[86:87], v[114:115]
	s_mov_b32 s17, 0x3fe2cf23
	s_mov_b32 s16, s0
	v_add_f64 v[150:151], v[112:113], -v[88:89]
	v_fma_f64 v[144:145], v[140:141], s[0:1], v[148:149]
	v_fma_f64 v[148:149], v[140:141], s[14:15], v[116:117]
	v_add_f64 v[134:135], v[80:81], v[134:135]
	v_fma_f64 v[136:137], v[140:141], s[16:17], v[136:137]
	v_add_f64 v[152:153], v[84:85], -v[80:81]
	v_fma_f64 v[116:117], v[140:141], s[6:7], v[116:117]
	v_add_f64 v[140:141], v[90:91], v[118:119]
	v_fma_f64 v[146:147], v[146:147], -0.5, v[118:119]
	v_add_f64 v[80:81], v[88:89], -v[80:81]
	v_fma_f64 v[88:89], v[138:139], s[0:1], v[148:149]
	v_add_f64 v[148:149], v[82:83], v[90:91]
	s_mov_b32 s8, 0x372fe950
	s_mov_b32 s9, 0x3fd3c6ef
	v_fma_f64 v[144:145], v[142:143], s[8:9], v[144:145]
	v_fma_f64 v[136:137], v[142:143], s[8:9], v[136:137]
	v_add_f64 v[142:143], v[152:153], v[150:151]
	v_fma_f64 v[116:117], v[138:139], s[16:17], v[116:117]
	v_add_f64 v[138:139], v[114:115], v[140:141]
	v_fma_f64 v[140:141], v[80:81], s[14:15], v[146:147]
	v_add_f64 v[84:85], v[112:113], -v[84:85]
	v_fma_f64 v[146:147], v[80:81], s[6:7], v[146:147]
	v_fma_f64 v[118:119], v[148:149], -0.5, v[118:119]
	v_add_f64 v[112:113], v[90:91], -v[114:115]
	v_add_f64 v[150:151], v[82:83], -v[86:87]
	v_fma_f64 v[148:149], v[142:143], s[8:9], v[88:89]
	v_fma_f64 v[142:143], v[142:143], s[8:9], v[116:117]
	v_add_f64 v[88:89], v[86:87], v[138:139]
	v_fma_f64 v[116:117], v[84:85], s[16:17], v[140:141]
	v_add_f64 v[138:139], v[48:49], v[52:53]
	v_fma_f64 v[140:141], v[84:85], s[0:1], v[146:147]
	v_fma_f64 v[146:147], v[84:85], s[6:7], v[118:119]
	v_add_f64 v[90:91], v[114:115], -v[90:91]
	v_add_f64 v[86:87], v[86:87], -v[82:83]
	v_add_f64 v[112:113], v[150:151], v[112:113]
	v_fma_f64 v[84:85], v[84:85], s[14:15], v[118:119]
	v_add_f64 v[114:115], v[76:77], v[56:57]
	v_fma_f64 v[118:119], v[138:139], -0.5, v[56:57]
	s_waitcnt vmcnt(20)
	v_add_f64 v[138:139], v[78:79], -v[42:43]
	v_add_f64 v[150:151], v[82:83], v[88:89]
	v_fma_f64 v[82:83], v[80:81], s[16:17], v[146:147]
	v_add_f64 v[86:87], v[86:87], v[90:91]
	v_fma_f64 v[152:153], v[112:113], s[8:9], v[116:117]
	v_fma_f64 v[140:141], v[112:113], s[8:9], v[140:141]
	;; [unrolled: 1-line block ×3, first 2 shown]
	v_add_f64 v[84:85], v[52:53], v[114:115]
	v_fma_f64 v[88:89], v[138:139], s[6:7], v[118:119]
	v_add_f64 v[90:91], v[54:55], -v[50:51]
	v_add_f64 v[112:113], v[76:77], -v[52:53]
	v_add_f64 v[114:115], v[40:41], -v[48:49]
	v_fma_f64 v[146:147], v[86:87], s[8:9], v[82:83]
	v_add_f64 v[82:83], v[40:41], v[76:77]
	v_add_f64 v[116:117], v[50:51], v[54:55]
	v_fma_f64 v[154:155], v[86:87], s[8:9], v[80:81]
	v_add_f64 v[80:81], v[48:49], v[84:85]
	v_fma_f64 v[84:85], v[90:91], s[0:1], v[88:89]
	v_add_f64 v[86:87], v[42:43], v[78:79]
	v_add_f64 v[88:89], v[114:115], v[112:113]
	v_add_f64 v[114:115], v[76:77], -v[40:41]
	v_fma_f64 v[56:57], v[82:83], -0.5, v[56:57]
	v_fma_f64 v[82:83], v[116:117], -0.5, v[58:59]
	v_add_f64 v[156:157], v[78:79], -v[54:55]
	v_add_f64 v[116:117], v[40:41], v[80:81]
	v_add_f64 v[80:81], v[52:53], -v[48:49]
	v_fma_f64 v[86:87], v[86:87], -0.5, v[58:59]
	v_add_f64 v[52:53], v[52:53], -v[76:77]
	v_add_f64 v[158:159], v[42:43], -v[50:51]
	v_add_f64 v[58:59], v[78:79], v[58:59]
	v_fma_f64 v[76:77], v[114:115], s[14:15], v[82:83]
	v_fma_f64 v[112:113], v[138:139], s[14:15], v[118:119]
	;; [unrolled: 1-line block ×3, first 2 shown]
	v_add_f64 v[162:163], v[54:55], -v[78:79]
	v_fma_f64 v[160:161], v[80:81], s[6:7], v[86:87]
	v_add_f64 v[164:165], v[50:51], -v[42:43]
	v_add_f64 v[40:41], v[48:49], -v[40:41]
	v_fma_f64 v[48:49], v[90:91], s[6:7], v[56:57]
	v_fma_f64 v[56:57], v[80:81], s[14:15], v[86:87]
	;; [unrolled: 1-line block ×3, first 2 shown]
	v_add_f64 v[78:79], v[158:159], v[156:157]
	v_add_f64 v[54:55], v[54:55], v[58:59]
	v_fma_f64 v[58:59], v[114:115], s[6:7], v[82:83]
	v_fma_f64 v[112:113], v[90:91], s[16:17], v[112:113]
	;; [unrolled: 1-line block ×3, first 2 shown]
	v_add_f64 v[90:91], v[164:165], v[162:163]
	v_fma_f64 v[82:83], v[138:139], s[0:1], v[118:119]
	v_fma_f64 v[56:57], v[114:115], s[0:1], v[56:57]
	v_add_f64 v[40:41], v[40:41], v[52:53]
	v_fma_f64 v[48:49], v[138:139], s[16:17], v[48:49]
	v_fma_f64 v[52:53], v[78:79], s[8:9], v[76:77]
	;; [unrolled: 3-line block ×3, first 2 shown]
	v_fma_f64 v[76:77], v[90:91], s[8:9], v[86:87]
	v_fma_f64 v[56:57], v[90:91], s[8:9], v[56:57]
	;; [unrolled: 1-line block ×4, first 2 shown]
	v_mul_f64 v[48:49], v[52:53], s[0:1]
	v_add_f64 v[50:51], v[42:43], v[50:51]
	v_fma_f64 v[42:43], v[78:79], s[8:9], v[54:55]
	s_mov_b32 s18, 0x9b97f4a8
	s_mov_b32 s19, 0x3fe9e377
	;; [unrolled: 1-line block ×6, first 2 shown]
	v_fma_f64 v[58:59], v[88:89], s[8:9], v[112:113]
	v_mul_f64 v[86:87], v[76:77], s[6:7]
	v_mul_f64 v[54:55], v[56:57], s[6:7]
	v_fma_f64 v[78:79], v[84:85], s[18:19], v[48:49]
	v_mul_f64 v[48:49], v[42:43], s[0:1]
	v_mul_f64 v[56:57], v[56:57], s[20:21]
	;; [unrolled: 1-line block ×3, first 2 shown]
	v_add_f64 v[80:81], v[116:117], v[134:135]
	s_waitcnt vmcnt(14)
	v_add_f64 v[162:163], v[74:75], -v[70:71]
	v_fma_f64 v[112:113], v[82:83], s[8:9], v[86:87]
	v_fma_f64 v[114:115], v[40:41], s[20:21], v[54:55]
	v_mul_f64 v[54:55], v[84:85], s[16:17]
	v_mul_f64 v[84:85], v[82:83], s[14:15]
	v_fma_f64 v[138:139], v[58:59], s[22:23], v[48:49]
	v_fma_f64 v[158:159], v[40:41], s[14:15], v[56:57]
	v_fma_f64 v[160:161], v[58:59], s[16:17], v[42:43]
	v_add_f64 v[56:57], v[92:93], v[108:109]
	s_waitcnt vmcnt(13)
	v_add_f64 v[58:59], v[100:101], v[104:105]
	v_add_f64 v[82:83], v[144:145], v[78:79]
	;; [unrolled: 1-line block ×4, first 2 shown]
	v_fma_f64 v[76:77], v[76:77], s[8:9], v[84:85]
	v_add_f64 v[84:85], v[136:137], v[138:139]
	v_add_f64 v[86:87], v[134:135], -v[116:117]
	v_add_f64 v[116:117], v[144:145], -v[78:79]
	;; [unrolled: 1-line block ×3, first 2 shown]
	v_add_f64 v[78:79], v[104:105], v[56:57]
	v_fma_f64 v[134:135], v[58:59], -0.5, v[108:109]
	s_waitcnt vmcnt(11)
	v_add_f64 v[144:145], v[94:95], -v[98:99]
	v_add_f64 v[112:113], v[142:143], -v[114:115]
	;; [unrolled: 1-line block ×3, first 2 shown]
	v_add_f64 v[136:137], v[96:97], v[92:93]
	v_fma_f64 v[156:157], v[52:53], s[18:19], v[54:55]
	v_add_f64 v[40:41], v[50:51], v[150:151]
	v_add_f64 v[52:53], v[146:147], v[76:77]
	v_add_f64 v[50:51], v[150:151], -v[50:51]
	v_add_f64 v[58:59], v[146:147], -v[76:77]
	v_add_f64 v[138:139], v[100:101], v[78:79]
	v_fma_f64 v[142:143], v[144:145], s[6:7], v[134:135]
	v_add_f64 v[146:147], v[106:107], -v[102:103]
	v_add_f64 v[148:149], v[92:93], -v[104:105]
	;; [unrolled: 1-line block ×3, first 2 shown]
	v_fma_f64 v[108:109], v[136:137], -0.5, v[108:109]
	v_add_f64 v[48:49], v[140:141], v[160:161]
	v_fma_f64 v[134:135], v[144:145], s[14:15], v[134:135]
	v_add_f64 v[78:79], v[140:141], -v[160:161]
	v_add_f64 v[136:137], v[96:97], v[138:139]
	v_fma_f64 v[138:139], v[146:147], s[0:1], v[142:143]
	v_add_f64 v[140:141], v[102:103], v[106:107]
	v_add_f64 v[142:143], v[150:151], v[148:149]
	v_fma_f64 v[148:149], v[146:147], s[14:15], v[108:109]
	v_add_f64 v[42:43], v[152:153], v[156:157]
	v_add_f64 v[56:57], v[152:153], -v[156:157]
	v_fma_f64 v[134:135], v[146:147], s[16:17], v[134:135]
	v_add_f64 v[150:151], v[104:105], -v[92:93]
	v_add_f64 v[152:153], v[100:101], -v[96:97]
	v_fma_f64 v[108:109], v[146:147], s[6:7], v[108:109]
	v_add_f64 v[146:147], v[94:95], v[110:111]
	v_fma_f64 v[140:141], v[140:141], -0.5, v[110:111]
	v_add_f64 v[92:93], v[92:93], -v[96:97]
	v_fma_f64 v[96:97], v[144:145], s[0:1], v[148:149]
	v_add_f64 v[148:149], v[98:99], v[94:95]
	v_fma_f64 v[138:139], v[142:143], s[8:9], v[138:139]
	v_fma_f64 v[134:135], v[142:143], s[8:9], v[134:135]
	v_add_f64 v[142:143], v[152:153], v[150:151]
	v_fma_f64 v[108:109], v[144:145], s[16:17], v[108:109]
	v_add_f64 v[144:145], v[106:107], v[146:147]
	v_fma_f64 v[146:147], v[92:93], s[14:15], v[140:141]
	v_add_f64 v[100:101], v[104:105], -v[100:101]
	v_fma_f64 v[110:111], v[148:149], -0.5, v[110:111]
	v_add_f64 v[104:105], v[94:95], -v[106:107]
	v_add_f64 v[150:151], v[98:99], -v[102:103]
	v_fma_f64 v[140:141], v[92:93], s[6:7], v[140:141]
	v_fma_f64 v[148:149], v[142:143], s[8:9], v[96:97]
	v_fma_f64 v[108:109], v[142:143], s[8:9], v[108:109]
	v_add_f64 v[96:97], v[102:103], v[144:145]
	v_fma_f64 v[142:143], v[100:101], s[16:17], v[146:147]
	v_add_f64 v[144:145], v[60:61], v[72:73]
	v_fma_f64 v[146:147], v[100:101], s[6:7], v[110:111]
	v_add_f64 v[94:95], v[106:107], -v[94:95]
	v_add_f64 v[102:103], v[102:103], -v[98:99]
	v_add_f64 v[104:105], v[150:151], v[104:105]
	v_fma_f64 v[140:141], v[100:101], s[0:1], v[140:141]
	v_fma_f64 v[100:101], v[100:101], s[14:15], v[110:111]
	v_add_f64 v[106:107], v[68:69], v[64:65]
	v_fma_f64 v[110:111], v[144:145], -0.5, v[64:65]
	s_waitcnt vmcnt(10)
	v_add_f64 v[144:145], v[70:71], -v[46:47]
	v_add_f64 v[150:151], v[98:99], v[96:97]
	v_fma_f64 v[96:97], v[92:93], s[16:17], v[146:147]
	v_add_f64 v[94:95], v[102:103], v[94:95]
	v_fma_f64 v[142:143], v[104:105], s[8:9], v[142:143]
	v_fma_f64 v[140:141], v[104:105], s[8:9], v[140:141]
	;; [unrolled: 1-line block ×3, first 2 shown]
	v_add_f64 v[98:99], v[72:73], v[106:107]
	v_fma_f64 v[100:101], v[144:145], s[6:7], v[110:111]
	v_add_f64 v[102:103], v[74:75], -v[62:63]
	v_add_f64 v[104:105], v[68:69], -v[72:73]
	;; [unrolled: 1-line block ×3, first 2 shown]
	v_fma_f64 v[146:147], v[94:95], s[8:9], v[96:97]
	v_add_f64 v[96:97], v[44:45], v[68:69]
	v_add_f64 v[152:153], v[62:63], v[74:75]
	;; [unrolled: 1-line block ×3, first 2 shown]
	v_add_f64 v[76:77], v[154:155], -v[158:159]
	v_fma_f64 v[154:155], v[94:95], s[8:9], v[92:93]
	v_add_f64 v[92:93], v[60:61], v[98:99]
	v_fma_f64 v[94:95], v[102:103], s[0:1], v[100:101]
	v_add_f64 v[98:99], v[46:47], v[70:71]
	v_add_f64 v[100:101], v[106:107], v[104:105]
	v_fma_f64 v[64:65], v[96:97], -0.5, v[64:65]
	v_fma_f64 v[96:97], v[152:153], -0.5, v[66:67]
	v_add_f64 v[106:107], v[68:69], -v[44:45]
	v_fma_f64 v[104:105], v[144:145], s[14:15], v[110:111]
	v_add_f64 v[110:111], v[44:45], v[92:93]
	v_add_f64 v[92:93], v[72:73], -v[60:61]
	v_fma_f64 v[98:99], v[98:99], -0.5, v[66:67]
	v_add_f64 v[68:69], v[72:73], -v[68:69]
	v_add_f64 v[156:157], v[70:71], -v[74:75]
	;; [unrolled: 1-line block ×3, first 2 shown]
	v_fma_f64 v[72:73], v[106:107], s[14:15], v[96:97]
	v_add_f64 v[164:165], v[62:63], -v[46:47]
	v_add_f64 v[44:45], v[60:61], -v[44:45]
	v_add_f64 v[60:61], v[70:71], v[66:67]
	v_fma_f64 v[160:161], v[92:93], s[6:7], v[98:99]
	v_fma_f64 v[152:153], v[102:103], s[14:15], v[64:65]
	;; [unrolled: 1-line block ×6, first 2 shown]
	v_add_f64 v[96:97], v[158:159], v[156:157]
	v_add_f64 v[156:157], v[164:165], v[162:163]
	v_fma_f64 v[98:99], v[106:107], s[16:17], v[160:161]
	v_add_f64 v[60:61], v[74:75], v[60:61]
	v_fma_f64 v[64:65], v[102:103], s[6:7], v[64:65]
	v_fma_f64 v[74:75], v[144:145], s[0:1], v[152:153]
	v_fma_f64 v[70:71], v[106:107], s[0:1], v[70:71]
	v_fma_f64 v[72:73], v[92:93], s[0:1], v[72:73]
	v_fma_f64 v[66:67], v[96:97], s[8:9], v[66:67]
	v_add_f64 v[44:45], v[44:45], v[68:69]
	v_fma_f64 v[68:69], v[156:157], s[8:9], v[98:99]
	v_add_f64 v[60:61], v[62:63], v[60:61]
	v_fma_f64 v[94:95], v[100:101], s[8:9], v[94:95]
	v_fma_f64 v[64:65], v[144:145], s[16:17], v[64:65]
	;; [unrolled: 1-line block ×5, first 2 shown]
	v_mul_f64 v[92:93], v[66:67], s[0:1]
	v_fma_f64 v[74:75], v[44:45], s[8:9], v[74:75]
	v_mul_f64 v[96:97], v[68:69], s[6:7]
	v_add_f64 v[103:104], v[46:47], v[60:61]
	v_fma_f64 v[64:65], v[44:45], s[8:9], v[64:65]
	v_add_f64 v[44:45], v[110:111], v[136:137]
	v_mul_f64 v[60:61], v[72:73], s[0:1]
	v_mul_f64 v[72:73], v[72:73], s[22:23]
	;; [unrolled: 1-line block ×3, first 2 shown]
	v_fma_f64 v[105:106], v[94:95], s[18:19], v[92:93]
	v_mul_f64 v[92:93], v[94:95], s[16:17]
	v_fma_f64 v[144:145], v[74:75], s[8:9], v[96:97]
	v_mul_f64 v[74:75], v[74:75], s[14:15]
	v_mul_f64 v[70:71], v[70:71], s[20:21]
	v_fma_f64 v[156:157], v[62:63], s[22:23], v[60:61]
	v_fma_f64 v[164:165], v[62:63], s[16:17], v[72:73]
	s_waitcnt vmcnt(3)
	v_add_f64 v[72:73], v[28:29], v[24:25]
	v_fma_f64 v[152:153], v[64:65], s[20:21], v[46:47]
	v_add_f64 v[46:47], v[138:139], v[105:106]
	v_fma_f64 v[158:159], v[66:67], s[18:19], v[92:93]
	v_fma_f64 v[160:161], v[68:69], s[8:9], v[74:75]
	;; [unrolled: 1-line block ×3, first 2 shown]
	v_add_f64 v[64:65], v[134:135], v[156:157]
	v_add_f64 v[66:67], v[136:137], -v[110:111]
	v_add_f64 v[68:69], v[138:139], -v[105:106]
	v_add_f64 v[110:111], v[20:21], v[36:37]
	v_fma_f64 v[136:137], v[72:73], -0.5, v[36:37]
	s_waitcnt vmcnt(1)
	v_add_f64 v[138:139], v[22:23], -v[34:35]
	v_add_f64 v[74:75], v[134:135], -v[156:157]
	v_add_f64 v[134:135], v[32:33], v[20:21]
	v_add_f64 v[60:61], v[148:149], v[144:145]
	;; [unrolled: 1-line block ×7, first 2 shown]
	v_add_f64 v[70:71], v[148:149], -v[144:145]
	v_add_f64 v[72:73], v[108:109], -v[152:153]
	;; [unrolled: 1-line block ×5, first 2 shown]
	v_add_f64 v[109:110], v[24:25], v[110:111]
	v_fma_f64 v[142:143], v[138:139], s[6:7], v[136:137]
	v_add_f64 v[144:145], v[26:27], -v[30:31]
	v_add_f64 v[146:147], v[20:21], -v[24:25]
	;; [unrolled: 1-line block ×3, first 2 shown]
	v_fma_f64 v[150:151], v[138:139], s[14:15], v[136:137]
	v_fma_f64 v[36:37], v[134:135], -0.5, v[36:37]
	v_add_f64 v[136:137], v[140:141], -v[164:165]
	v_add_f64 v[140:141], v[30:31], v[26:27]
	v_add_f64 v[99:100], v[154:155], v[162:163]
	v_add_f64 v[134:135], v[154:155], -v[162:163]
	v_add_f64 v[109:110], v[28:29], v[109:110]
	v_fma_f64 v[142:143], v[144:145], s[0:1], v[142:143]
	v_add_f64 v[146:147], v[148:149], v[146:147]
	v_fma_f64 v[148:149], v[144:145], s[16:17], v[150:151]
	v_fma_f64 v[150:151], v[144:145], s[14:15], v[36:37]
	v_add_f64 v[152:153], v[24:25], -v[20:21]
	v_add_f64 v[154:155], v[28:29], -v[32:33]
	v_add_f64 v[156:157], v[22:23], v[38:39]
	v_fma_f64 v[140:141], v[140:141], -0.5, v[38:39]
	v_add_f64 v[20:21], v[20:21], -v[32:33]
	v_add_f64 v[32:33], v[32:33], v[109:110]
	v_fma_f64 v[109:110], v[146:147], s[8:9], v[142:143]
	v_fma_f64 v[148:149], v[146:147], s[8:9], v[148:149]
	v_fma_f64 v[142:143], v[138:139], s[0:1], v[150:151]
	v_add_f64 v[146:147], v[154:155], v[152:153]
	v_fma_f64 v[36:37], v[144:145], s[6:7], v[36:37]
	v_add_f64 v[144:145], v[26:27], v[156:157]
	v_fma_f64 v[150:151], v[20:21], s[14:15], v[140:141]
	v_add_f64 v[24:25], v[24:25], -v[28:29]
	v_add_f64 v[28:29], v[22:23], -v[26:27]
	;; [unrolled: 1-line block ×3, first 2 shown]
	v_fma_f64 v[140:141], v[20:21], s[6:7], v[140:141]
	v_add_f64 v[154:155], v[34:35], v[22:23]
	v_fma_f64 v[36:37], v[138:139], s[16:17], v[36:37]
	v_add_f64 v[138:139], v[30:31], v[144:145]
	v_fma_f64 v[156:157], v[146:147], s[8:9], v[142:143]
	v_fma_f64 v[144:145], v[24:25], s[16:17], v[150:151]
	v_add_f64 v[142:143], v[4:5], v[8:9]
	v_add_f64 v[28:29], v[152:153], v[28:29]
	v_fma_f64 v[140:141], v[24:25], s[0:1], v[140:141]
	v_fma_f64 v[38:39], v[154:155], -0.5, v[38:39]
	v_add_f64 v[22:23], v[26:27], -v[22:23]
	v_add_f64 v[150:151], v[34:35], v[138:139]
	v_add_f64 v[138:139], v[12:13], v[16:17]
	v_add_f64 v[26:27], v[30:31], -v[34:35]
	v_fma_f64 v[36:37], v[146:147], s[8:9], v[36:37]
	v_fma_f64 v[152:153], v[28:29], s[8:9], v[144:145]
	;; [unrolled: 1-line block ×4, first 2 shown]
	v_fma_f64 v[142:143], v[142:143], -0.5, v[16:17]
	s_waitcnt vmcnt(0)
	v_add_f64 v[146:147], v[14:15], -v[2:3]
	v_fma_f64 v[24:25], v[24:25], s[14:15], v[38:39]
	v_add_f64 v[30:31], v[8:9], v[138:139]
	v_add_f64 v[144:145], v[12:13], -v[8:9]
	v_add_f64 v[154:155], v[0:1], -v[4:5]
	v_add_f64 v[22:23], v[26:27], v[22:23]
	v_fma_f64 v[140:141], v[20:21], s[16:17], v[140:141]
	v_add_f64 v[38:39], v[10:11], -v[6:7]
	v_fma_f64 v[34:35], v[146:147], s[6:7], v[142:143]
	v_add_f64 v[138:139], v[0:1], v[12:13]
	v_add_f64 v[158:159], v[6:7], v[10:11]
	v_fma_f64 v[20:21], v[20:21], s[0:1], v[24:25]
	v_add_f64 v[24:25], v[4:5], v[30:31]
	v_add_f64 v[30:31], v[154:155], v[144:145]
	v_fma_f64 v[154:155], v[22:23], s[8:9], v[140:141]
	v_add_f64 v[140:141], v[2:3], v[14:15]
	v_fma_f64 v[26:27], v[38:39], s[0:1], v[34:35]
	v_fma_f64 v[16:17], v[138:139], -0.5, v[16:17]
	v_fma_f64 v[34:35], v[158:159], -0.5, v[18:19]
	v_add_f64 v[138:139], v[12:13], -v[0:1]
	v_add_f64 v[158:159], v[8:9], -v[4:5]
	v_fma_f64 v[20:21], v[22:23], s[8:9], v[20:21]
	v_add_f64 v[22:23], v[0:1], v[24:25]
	v_fma_f64 v[140:141], v[140:141], -0.5, v[18:19]
	v_fma_f64 v[24:25], v[30:31], s[8:9], v[26:27]
	v_add_f64 v[8:9], v[8:9], -v[12:13]
	v_add_f64 v[12:13], v[14:15], -v[10:11]
	v_fma_f64 v[26:27], v[138:139], s[14:15], v[34:35]
	v_add_f64 v[160:161], v[2:3], -v[6:7]
	v_add_f64 v[18:19], v[14:15], v[18:19]
	v_add_f64 v[14:15], v[10:11], -v[14:15]
	v_fma_f64 v[162:163], v[158:159], s[6:7], v[140:141]
	v_add_f64 v[164:165], v[6:7], -v[2:3]
	v_fma_f64 v[140:141], v[158:159], s[14:15], v[140:141]
	v_fma_f64 v[34:35], v[138:139], s[6:7], v[34:35]
	;; [unrolled: 1-line block ×4, first 2 shown]
	v_add_f64 v[12:13], v[160:161], v[12:13]
	v_add_f64 v[0:1], v[4:5], -v[0:1]
	v_fma_f64 v[142:143], v[146:147], s[14:15], v[142:143]
	v_fma_f64 v[4:5], v[38:39], s[6:7], v[16:17]
	v_add_f64 v[10:11], v[10:11], v[18:19]
	v_fma_f64 v[16:17], v[138:139], s[16:17], v[162:163]
	v_add_f64 v[14:15], v[164:165], v[14:15]
	v_fma_f64 v[18:19], v[138:139], s[0:1], v[140:141]
	v_fma_f64 v[34:35], v[158:159], s[0:1], v[34:35]
	;; [unrolled: 1-line block ×4, first 2 shown]
	v_add_f64 v[0:1], v[0:1], v[8:9]
	v_fma_f64 v[142:143], v[38:39], s[16:17], v[142:143]
	v_fma_f64 v[4:5], v[146:147], s[16:17], v[4:5]
	v_add_f64 v[6:7], v[6:7], v[10:11]
	v_fma_f64 v[10:11], v[14:15], s[8:9], v[16:17]
	v_fma_f64 v[14:15], v[14:15], s[8:9], v[18:19]
	;; [unrolled: 1-line block ×3, first 2 shown]
	v_mul_f64 v[16:17], v[26:27], s[0:1]
	v_fma_f64 v[18:19], v[0:1], s[8:9], v[144:145]
	v_fma_f64 v[8:9], v[30:31], s[8:9], v[142:143]
	v_fma_f64 v[4:5], v[0:1], s[8:9], v[4:5]
	v_add_f64 v[30:31], v[2:3], v[6:7]
	v_mul_f64 v[2:3], v[10:11], s[6:7]
	v_mul_f64 v[6:7], v[14:15], s[6:7]
	;; [unrolled: 1-line block ×3, first 2 shown]
	v_fma_f64 v[16:17], v[24:25], s[18:19], v[16:17]
	v_mul_f64 v[24:25], v[24:25], s[16:17]
	v_mul_f64 v[38:39], v[18:19], s[14:15]
	;; [unrolled: 1-line block ×4, first 2 shown]
	v_fma_f64 v[18:19], v[18:19], s[8:9], v[2:3]
	v_fma_f64 v[158:159], v[4:5], s[20:21], v[6:7]
	v_fma_f64 v[34:35], v[8:9], s[22:23], v[34:35]
	v_add_f64 v[0:1], v[22:23], v[32:33]
	v_fma_f64 v[24:25], v[26:27], s[18:19], v[24:25]
	v_fma_f64 v[26:27], v[10:11], s[8:9], v[38:39]
	;; [unrolled: 1-line block ×3, first 2 shown]
	v_add_f64 v[2:3], v[109:110], v[16:17]
	v_fma_f64 v[160:161], v[8:9], s[16:17], v[12:13]
	v_add_f64 v[4:5], v[156:157], v[18:19]
	v_add_f64 v[6:7], v[36:37], v[158:159]
	;; [unrolled: 1-line block ×3, first 2 shown]
	v_add_f64 v[10:11], v[32:33], -v[22:23]
	v_add_f64 v[138:139], v[30:31], v[150:151]
	v_add_f64 v[140:141], v[152:153], v[24:25]
	;; [unrolled: 1-line block ×4, first 2 shown]
	v_add_f64 v[12:13], v[109:110], -v[16:17]
	v_add_f64 v[14:15], v[156:157], -v[18:19]
	;; [unrolled: 1-line block ×7, first 2 shown]
	v_mul_u32_u24_e32 v20, 10, v124
	v_add_f64 v[16:17], v[36:37], -v[158:159]
	v_lshl_add_u32 v109, v20, 3, 0
	v_mul_i32_i24_e32 v20, 10, v129
	s_load_dwordx2 s[4:5], s[4:5], 0x0
	ds_write_b128 v109, v[80:83]
	ds_write_b128 v109, v[88:91] offset:16
	ds_write_b128 v109, v[84:87] offset:32
	;; [unrolled: 1-line block ×4, first 2 shown]
	v_lshl_add_u32 v88, v20, 3, 0
	v_mul_i32_i24_e32 v20, 10, v132
	s_movk_i32 s18, 0xffb8
	ds_write_b128 v88, v[44:47]
	ds_write_b128 v88, v[60:63] offset:16
	ds_write_b128 v88, v[64:67] offset:32
	;; [unrolled: 1-line block ×4, first 2 shown]
	v_lshl_add_u32 v89, v20, 3, 0
	v_mad_i32_i24 v74, v124, s18, v109
	v_add_u32_e32 v80, 0x2c00, v74
	v_add_u32_e32 v81, 0x4400, v74
	;; [unrolled: 1-line block ×3, first 2 shown]
	v_mad_i32_i24 v86, v129, s18, v88
	v_add_u32_e32 v170, 0x1c00, v74
	v_add_u32_e32 v174, 0x3400, v74
	;; [unrolled: 1-line block ×4, first 2 shown]
	v_mad_i32_i24 v87, v132, s18, v89
	v_add_u32_e32 v202, 0x2400, v74
	v_add_u32_e32 v206, 0x3c00, v74
	;; [unrolled: 1-line block ×4, first 2 shown]
	v_lshl_add_u32 v91, v127, 3, 0
	s_movk_i32 s18, 0xcd
	v_add_f64 v[146:147], v[28:29], v[160:161]
	v_add_f64 v[156:157], v[28:29], -v[160:161]
	ds_write_b128 v89, v[0:3]
	ds_write_b128 v89, v[4:7] offset:16
	ds_write_b128 v89, v[8:11] offset:32
	ds_write_b128 v89, v[12:15] offset:48
	ds_write_b128 v89, v[16:19] offset:64
	s_waitcnt lgkmcnt(0)
	s_barrier
	ds_read_b64 v[70:71], v74
	ds_read_b64 v[62:63], v91
	v_lshl_add_u32 v90, v126, 3, 0
	ds_read2_b64 v[8:11], v80 offset0:77 offset1:212
	ds_read2_b64 v[4:7], v81 offset0:119 offset1:254
	;; [unrolled: 1-line block ×7, first 2 shown]
	v_lshl_add_u32 v75, v125, 3, 0
	ds_read2_b64 v[20:23], v202 offset0:63 offset1:198
	ds_read2_b64 v[24:27], v206 offset0:105 offset1:240
	;; [unrolled: 1-line block ×4, first 2 shown]
	v_lshl_add_u32 v92, v131, 3, 0
	ds_read_b64 v[66:67], v87
	ds_read_b64 v[68:69], v86
	;; [unrolled: 1-line block ×5, first 2 shown]
	ds_read_b64 v[72:73], v74 offset:31320
	s_waitcnt lgkmcnt(0)
	s_barrier
	ds_write_b128 v109, v[40:43]
	ds_write_b128 v109, v[52:55] offset:16
	ds_write_b128 v109, v[48:51] offset:32
	ds_write_b128 v109, v[56:59] offset:48
	ds_write_b128 v109, v[76:79] offset:64
	ds_write_b128 v88, v[93:96]
	ds_write_b128 v88, v[97:100] offset:16
	ds_write_b128 v88, v[101:104] offset:32
	ds_write_b128 v88, v[105:108] offset:48
	ds_write_b128 v88, v[134:137] offset:64
	;; [unrolled: 5-line block ×3, first 2 shown]
	v_mul_lo_u16_sdwa v40, v124, s18 dst_sel:DWORD dst_unused:UNUSED_PAD src0_sel:BYTE_0 src1_sel:DWORD
	v_lshrrev_b16_e32 v54, 11, v40
	v_mul_lo_u16_e32 v40, 10, v54
	v_sub_u16_e32 v55, v124, v40
	v_mov_b32_e32 v40, 6
	v_lshlrev_b32_sdwa v40, v40, v55 dst_sel:DWORD dst_unused:UNUSED_PAD src0_sel:DWORD src1_sel:BYTE_0
	s_waitcnt lgkmcnt(0)
	s_barrier
	global_load_dwordx4 v[48:51], v40, s[12:13]
	global_load_dwordx4 v[82:85], v40, s[12:13] offset:16
	global_load_dwordx4 v[93:96], v40, s[12:13] offset:32
	;; [unrolled: 1-line block ×3, first 2 shown]
	s_mov_b32 s18, 0xcccd
	v_mul_u32_u24_sdwa v40, v129, s18 dst_sel:DWORD dst_unused:UNUSED_PAD src0_sel:WORD_0 src1_sel:DWORD
	v_lshrrev_b32_e32 v56, 19, v40
	v_mul_lo_u16_e32 v40, 10, v56
	v_sub_u16_e32 v57, v129, v40
	v_lshlrev_b32_e32 v40, 6, v57
	global_load_dwordx4 v[101:104], v40, s[12:13]
	global_load_dwordx4 v[105:108], v40, s[12:13] offset:16
	global_load_dwordx4 v[109:112], v40, s[12:13] offset:32
	;; [unrolled: 1-line block ×3, first 2 shown]
	v_mul_u32_u24_sdwa v40, v132, s18 dst_sel:DWORD dst_unused:UNUSED_PAD src0_sel:WORD_0 src1_sel:DWORD
	v_lshrrev_b32_e32 v58, 19, v40
	v_mul_lo_u16_e32 v40, 10, v58
	v_sub_u16_e32 v59, v132, v40
	v_lshlrev_b32_e32 v40, 6, v59
	global_load_dwordx4 v[134:137], v40, s[12:13]
	global_load_dwordx4 v[138:141], v40, s[12:13] offset:16
	ds_read_b64 v[230:231], v74
	ds_read2_b64 v[142:145], v80 offset0:77 offset1:212
	ds_read2_b64 v[146:149], v81 offset0:119 offset1:254
	;; [unrolled: 1-line block ×3, first 2 shown]
	global_load_dwordx4 v[154:157], v40, s[12:13] offset:48
	global_load_dwordx4 v[158:161], v40, s[12:13] offset:32
	v_mul_u32_u24_sdwa v40, v125, s18 dst_sel:DWORD dst_unused:UNUSED_PAD src0_sel:WORD_0 src1_sel:DWORD
	v_lshrrev_b32_e32 v76, 19, v40
	v_mul_lo_u16_e32 v40, 10, v76
	v_sub_u16_e32 v77, v125, v40
	v_lshlrev_b32_e32 v40, 6, v77
	global_load_dwordx4 v[162:165], v40, s[12:13] offset:16
	global_load_dwordx4 v[166:169], v40, s[12:13]
	ds_read2_b64 v[170:173], v170 offset0:49 offset1:184
	ds_read2_b64 v[174:177], v174 offset0:91 offset1:226
	;; [unrolled: 1-line block ×4, first 2 shown]
	global_load_dwordx4 v[186:189], v40, s[12:13] offset:48
	global_load_dwordx4 v[190:193], v40, s[12:13] offset:32
	v_mul_u32_u24_sdwa v40, v127, s18 dst_sel:DWORD dst_unused:UNUSED_PAD src0_sel:WORD_0 src1_sel:DWORD
	v_lshrrev_b32_e32 v78, 19, v40
	v_mul_lo_u16_e32 v40, 10, v78
	v_sub_u16_e32 v79, v127, v40
	v_lshlrev_b32_e32 v40, 6, v79
	global_load_dwordx4 v[194:197], v40, s[12:13] offset:16
	global_load_dwordx4 v[198:201], v40, s[12:13]
	ds_read_b64 v[42:43], v75
	ds_read_b64 v[232:233], v90
	ds_read2_b64 v[202:205], v202 offset0:63 offset1:198
	ds_read2_b64 v[206:209], v206 offset0:105 offset1:240
	ds_read2_b64 v[210:213], v210 offset0:19 offset1:154
	ds_read_b64 v[234:235], v74 offset:31320
	s_waitcnt vmcnt(17) lgkmcnt(4)
	v_mul_f64 v[236:237], v[232:233], v[50:51]
	v_mul_f64 v[238:239], v[117:118], v[50:51]
	global_load_dwordx4 v[214:217], v40, s[12:13] offset:48
	global_load_dwordx4 v[50:53], v40, s[12:13] offset:32
	s_waitcnt vmcnt(18)
	v_mul_f64 v[240:241], v[144:145], v[84:85]
	v_mul_f64 v[84:85], v[10:11], v[84:85]
	s_waitcnt vmcnt(17)
	v_mul_f64 v[242:243], v[148:149], v[95:96]
	v_mul_f64 v[95:96], v[6:7], v[95:96]
	v_mul_u32_u24_sdwa v40, v131, s18 dst_sel:DWORD dst_unused:UNUSED_PAD src0_sel:WORD_0 src1_sel:DWORD
	v_lshrrev_b32_e32 v80, 19, v40
	v_mul_lo_u16_e32 v40, 10, v80
	v_sub_u16_e32 v81, v131, v40
	v_lshlrev_b32_e32 v119, 6, v81
	global_load_dwordx4 v[218:221], v119, s[12:13] offset:16
	global_load_dwordx4 v[222:225], v119, s[12:13]
	ds_read2_b64 v[226:229], v226 offset0:61 offset1:196
	ds_read_b64 v[40:41], v91
	v_fma_f64 v[117:118], v[117:118], v[48:49], v[236:237]
	v_fma_f64 v[232:233], v[232:233], v[48:49], -v[238:239]
	v_fma_f64 v[236:237], v[10:11], v[82:83], v[240:241]
	v_fma_f64 v[144:145], v[144:145], v[82:83], -v[84:85]
	;; [unrolled: 2-line block ×3, first 2 shown]
	global_load_dwordx4 v[82:85], v119, s[12:13] offset:48
	global_load_dwordx4 v[93:96], v119, s[12:13] offset:32
	s_waitcnt vmcnt(20)
	v_mul_f64 v[6:7], v[152:153], v[99:100]
	v_mul_f64 v[10:11], v[2:3], v[99:100]
	s_waitcnt vmcnt(19)
	v_mul_f64 v[48:49], v[170:171], v[103:104]
	v_mul_f64 v[99:100], v[36:37], v[103:104]
	s_waitcnt vmcnt(18)
	v_mul_f64 v[103:104], v[174:175], v[107:108]
	s_mov_b32 s18, 0x91a3
	v_fma_f64 v[240:241], v[2:3], v[97:98], v[6:7]
	v_mul_f64 v[2:3], v[44:45], v[107:108]
	s_waitcnt vmcnt(17)
	v_mul_f64 v[6:7], v[178:179], v[111:112]
	v_fma_f64 v[97:98], v[152:153], v[97:98], -v[10:11]
	v_mul_f64 v[10:11], v[32:33], v[111:112]
	v_fma_f64 v[107:108], v[36:37], v[101:102], v[48:49]
	v_fma_f64 v[99:100], v[170:171], v[101:102], -v[99:100]
	v_fma_f64 v[101:102], v[44:45], v[105:106], v[103:104]
	s_waitcnt vmcnt(16)
	v_mul_f64 v[36:37], v[182:183], v[115:116]
	v_fma_f64 v[103:104], v[174:175], v[105:106], -v[2:3]
	v_fma_f64 v[105:106], v[32:33], v[109:110], v[6:7]
	s_waitcnt vmcnt(15)
	v_mul_f64 v[6:7], v[172:173], v[136:137]
	v_mul_f64 v[2:3], v[28:29], v[115:116]
	v_fma_f64 v[109:110], v[178:179], v[109:110], -v[10:11]
	v_mul_f64 v[10:11], v[38:39], v[136:137]
	s_waitcnt vmcnt(14)
	v_mul_f64 v[32:33], v[176:177], v[140:141]
	v_fma_f64 v[111:112], v[28:29], v[113:114], v[36:37]
	v_mul_f64 v[28:29], v[46:47], v[140:141]
	s_waitcnt vmcnt(11) lgkmcnt(4)
	v_mul_f64 v[44:45], v[206:207], v[164:165]
	v_fma_f64 v[140:141], v[38:39], v[134:135], v[6:7]
	v_mul_f64 v[6:7], v[180:181], v[160:161]
	s_waitcnt vmcnt(10)
	v_mul_f64 v[36:37], v[202:203], v[168:169]
	v_fma_f64 v[134:135], v[172:173], v[134:135], -v[10:11]
	v_fma_f64 v[152:153], v[46:47], v[138:139], v[32:33]
	v_mul_f64 v[10:11], v[34:35], v[160:161]
	v_fma_f64 v[138:139], v[176:177], v[138:139], -v[28:29]
	v_mul_f64 v[28:29], v[184:185], v[156:157]
	v_mul_f64 v[32:33], v[30:31], v[156:157]
	v_fma_f64 v[156:157], v[34:35], v[158:159], v[6:7]
	v_mul_f64 v[6:7], v[24:25], v[164:165]
	v_mul_f64 v[38:39], v[20:21], v[168:169]
	v_fma_f64 v[168:169], v[24:25], v[162:163], v[44:45]
	v_fma_f64 v[158:159], v[180:181], v[158:159], -v[10:11]
	s_waitcnt vmcnt(8) lgkmcnt(3)
	v_mul_f64 v[10:11], v[210:211], v[192:193]
	v_fma_f64 v[160:161], v[30:31], v[154:155], v[28:29]
	v_fma_f64 v[154:155], v[184:185], v[154:155], -v[32:33]
	v_fma_f64 v[164:165], v[20:21], v[166:167], v[36:37]
	v_fma_f64 v[162:163], v[206:207], v[162:163], -v[6:7]
	v_mul_f64 v[6:7], v[16:17], v[192:193]
	s_waitcnt lgkmcnt(1)
	v_mul_f64 v[20:21], v[226:227], v[188:189]
	s_waitcnt vmcnt(7)
	v_mul_f64 v[32:33], v[208:209], v[196:197]
	v_fma_f64 v[170:171], v[16:17], v[190:191], v[10:11]
	v_mul_f64 v[10:11], v[26:27], v[196:197]
	v_mul_f64 v[24:25], v[12:13], v[188:189]
	s_waitcnt vmcnt(6)
	v_mul_f64 v[28:29], v[204:205], v[200:201]
	v_mul_f64 v[30:31], v[22:23], v[200:201]
	v_fma_f64 v[172:173], v[210:211], v[190:191], -v[6:7]
	v_fma_f64 v[174:175], v[12:13], v[186:187], v[20:21]
	v_fma_f64 v[46:47], v[26:27], v[194:195], v[32:33]
	v_add_f64 v[34:35], v[117:118], v[240:241]
	v_fma_f64 v[26:27], v[208:209], v[194:195], -v[10:11]
	s_waitcnt vmcnt(5)
	v_mul_f64 v[16:17], v[228:229], v[216:217]
	s_waitcnt vmcnt(4)
	v_mul_f64 v[6:7], v[212:213], v[52:53]
	v_mul_f64 v[10:11], v[18:19], v[52:53]
	;; [unrolled: 1-line block ×3, first 2 shown]
	v_fma_f64 v[176:177], v[226:227], v[186:187], -v[24:25]
	v_fma_f64 v[48:49], v[22:23], v[198:199], v[28:29]
	v_fma_f64 v[166:167], v[202:203], v[166:167], -v[38:39]
	v_add_f64 v[44:45], v[144:145], -v[148:149]
	v_fma_f64 v[180:181], v[14:15], v[214:215], v[16:17]
	v_fma_f64 v[178:179], v[18:19], v[50:51], v[6:7]
	v_add_f64 v[18:19], v[236:237], v[238:239]
	s_waitcnt vmcnt(2)
	v_mul_f64 v[22:23], v[142:143], v[224:225]
	v_mul_f64 v[24:25], v[8:9], v[224:225]
	;; [unrolled: 1-line block ×3, first 2 shown]
	v_fma_f64 v[52:53], v[228:229], v[214:215], -v[20:21]
	v_add_f64 v[14:15], v[70:71], v[117:118]
	v_fma_f64 v[50:51], v[212:213], v[50:51], -v[10:11]
	v_fma_f64 v[12:13], v[204:205], v[198:199], -v[30:31]
	v_fma_f64 v[16:17], v[18:19], -0.5, v[70:71]
	v_add_f64 v[18:19], v[232:233], -v[97:98]
	s_waitcnt vmcnt(0)
	v_mul_f64 v[20:21], v[150:151], v[95:96]
	v_fma_f64 v[10:11], v[8:9], v[222:223], v[22:23]
	v_fma_f64 v[6:7], v[142:143], v[222:223], -v[24:25]
	v_fma_f64 v[8:9], v[4:5], v[218:219], v[28:29]
	v_mul_f64 v[4:5], v[4:5], v[220:221]
	v_mul_f64 v[22:23], v[0:1], v[95:96]
	;; [unrolled: 1-line block ×4, first 2 shown]
	v_add_f64 v[36:37], v[14:15], v[236:237]
	v_fma_f64 v[38:39], v[18:19], s[6:7], v[16:17]
	v_fma_f64 v[28:29], v[0:1], v[93:94], v[20:21]
	v_fma_f64 v[20:21], v[34:35], -0.5, v[70:71]
	v_fma_f64 v[14:15], v[146:147], v[218:219], -v[4:5]
	v_fma_f64 v[4:5], v[150:151], v[93:94], -v[22:23]
	v_fma_f64 v[30:31], v[72:73], v[82:83], v[24:25]
	v_fma_f64 v[0:1], v[234:235], v[82:83], -v[32:33]
	v_add_f64 v[22:23], v[36:37], v[238:239]
	v_fma_f64 v[24:25], v[44:45], s[0:1], v[38:39]
	v_add_f64 v[32:33], v[117:118], -v[236:237]
	v_add_f64 v[34:35], v[144:145], v[148:149]
	v_add_f64 v[36:37], v[240:241], -v[238:239]
	v_fma_f64 v[16:17], v[18:19], s[14:15], v[16:17]
	v_fma_f64 v[38:39], v[44:45], s[14:15], v[20:21]
	v_fma_f64 v[20:21], v[44:45], s[6:7], v[20:21]
	v_add_f64 v[70:71], v[236:237], -v[117:118]
	v_add_f64 v[72:73], v[238:239], -v[240:241]
	v_add_f64 v[82:83], v[230:231], v[232:233]
	v_fma_f64 v[84:85], v[34:35], -0.5, v[230:231]
	v_add_f64 v[93:94], v[117:118], -v[240:241]
	v_add_f64 v[34:35], v[32:33], v[36:37]
	v_fma_f64 v[16:17], v[44:45], s[16:17], v[16:17]
	v_fma_f64 v[38:39], v[18:19], s[0:1], v[38:39]
	;; [unrolled: 1-line block ×3, first 2 shown]
	v_add_f64 v[20:21], v[232:233], v[97:98]
	v_add_f64 v[44:45], v[70:71], v[72:73]
	;; [unrolled: 1-line block ×3, first 2 shown]
	v_fma_f64 v[72:73], v[93:94], s[14:15], v[84:85]
	v_add_f64 v[82:83], v[236:237], -v[238:239]
	v_fma_f64 v[36:37], v[34:35], s[8:9], v[24:25]
	v_fma_f64 v[34:35], v[34:35], s[8:9], v[16:17]
	v_fma_f64 v[113:114], v[182:183], v[113:114], -v[2:3]
	v_fma_f64 v[16:17], v[20:21], -0.5, v[230:231]
	v_add_f64 v[32:33], v[22:23], v[240:241]
	v_fma_f64 v[38:39], v[44:45], s[8:9], v[38:39]
	v_fma_f64 v[44:45], v[44:45], s[8:9], v[18:19]
	v_add_f64 v[18:19], v[70:71], v[148:149]
	v_fma_f64 v[20:21], v[82:83], s[16:17], v[72:73]
	v_add_f64 v[22:23], v[232:233], -v[144:145]
	v_add_f64 v[24:25], v[101:102], v[105:106]
	v_add_f64 v[70:71], v[97:98], -v[148:149]
	v_fma_f64 v[72:73], v[93:94], s[6:7], v[84:85]
	v_fma_f64 v[84:85], v[82:83], s[6:7], v[16:17]
	v_add_f64 v[95:96], v[144:145], -v[232:233]
	v_add_f64 v[117:118], v[148:149], -v[97:98]
	v_fma_f64 v[16:17], v[82:83], s[14:15], v[16:17]
	v_add_f64 v[142:143], v[68:69], v[107:108]
	v_fma_f64 v[144:145], v[24:25], -0.5, v[68:69]
	v_add_f64 v[146:147], v[99:100], -v[113:114]
	v_add_f64 v[22:23], v[22:23], v[70:71]
	v_fma_f64 v[70:71], v[93:94], s[16:17], v[84:85]
	v_add_f64 v[84:85], v[107:108], v[111:112]
	v_fma_f64 v[24:25], v[82:83], s[0:1], v[72:73]
	;; [unrolled: 2-line block ×4, first 2 shown]
	v_add_f64 v[117:118], v[103:104], -v[109:110]
	v_add_f64 v[16:17], v[18:19], v[97:98]
	v_fma_f64 v[68:69], v[84:85], -0.5, v[68:69]
	v_fma_f64 v[20:21], v[22:23], s[8:9], v[20:21]
	v_fma_f64 v[18:19], v[22:23], s[8:9], v[24:25]
	;; [unrolled: 1-line block ×4, first 2 shown]
	v_add_f64 v[70:71], v[93:94], v[105:106]
	v_fma_f64 v[72:73], v[117:118], s[0:1], v[95:96]
	v_add_f64 v[82:83], v[107:108], -v[101:102]
	v_add_f64 v[93:94], v[111:112], -v[105:106]
	v_fma_f64 v[95:96], v[146:147], s[14:15], v[144:145]
	v_fma_f64 v[97:98], v[117:118], s[14:15], v[68:69]
	v_add_f64 v[142:143], v[101:102], -v[107:108]
	v_add_f64 v[144:145], v[105:106], -v[111:112]
	ds_read_b64 v[115:116], v87
	ds_read_b64 v[136:137], v86
	;; [unrolled: 1-line block ×3, first 2 shown]
	v_add_f64 v[84:85], v[103:104], v[109:110]
	v_fma_f64 v[68:69], v[117:118], s[6:7], v[68:69]
	v_add_f64 v[82:83], v[82:83], v[93:94]
	s_waitcnt lgkmcnt(1)
	v_add_f64 v[148:149], v[136:137], v[99:100]
	v_fma_f64 v[93:94], v[117:118], s[16:17], v[95:96]
	v_fma_f64 v[95:96], v[146:147], s[0:1], v[97:98]
	v_add_f64 v[97:98], v[142:143], v[144:145]
	v_add_f64 v[117:118], v[99:100], v[113:114]
	v_fma_f64 v[84:85], v[84:85], -0.5, v[136:137]
	v_add_f64 v[107:108], v[107:108], -v[111:112]
	v_fma_f64 v[68:69], v[146:147], s[16:17], v[68:69]
	v_add_f64 v[142:143], v[148:149], v[103:104]
	v_add_f64 v[101:102], v[101:102], -v[105:106]
	v_fma_f64 v[72:73], v[82:83], s[8:9], v[72:73]
	v_fma_f64 v[82:83], v[82:83], s[8:9], v[93:94]
	;; [unrolled: 1-line block ×3, first 2 shown]
	v_fma_f64 v[95:96], v[117:118], -0.5, v[136:137]
	v_fma_f64 v[144:145], v[107:108], s[14:15], v[84:85]
	v_add_f64 v[70:71], v[70:71], v[111:112]
	v_fma_f64 v[68:69], v[97:98], s[8:9], v[68:69]
	v_add_f64 v[97:98], v[142:143], v[109:110]
	v_add_f64 v[111:112], v[99:100], -v[103:104]
	v_add_f64 v[117:118], v[152:153], v[156:157]
	v_fma_f64 v[84:85], v[107:108], s[6:7], v[84:85]
	v_fma_f64 v[142:143], v[101:102], s[6:7], v[95:96]
	v_add_f64 v[99:100], v[103:104], -v[99:100]
	v_add_f64 v[103:104], v[109:110], -v[113:114]
	v_fma_f64 v[105:106], v[101:102], s[16:17], v[144:145]
	v_add_f64 v[136:137], v[113:114], -v[109:110]
	v_fma_f64 v[95:96], v[101:102], s[14:15], v[95:96]
	v_add_f64 v[109:110], v[66:67], v[140:141]
	v_fma_f64 v[117:118], v[117:118], -0.5, v[66:67]
	v_add_f64 v[144:145], v[134:135], -v[154:155]
	v_fma_f64 v[84:85], v[101:102], s[0:1], v[84:85]
	v_fma_f64 v[101:102], v[107:108], s[16:17], v[142:143]
	v_add_f64 v[99:100], v[99:100], v[103:104]
	v_add_f64 v[103:104], v[140:141], v[160:161]
	;; [unrolled: 1-line block ×3, first 2 shown]
	v_fma_f64 v[95:96], v[107:108], s[0:1], v[95:96]
	v_add_f64 v[107:108], v[109:110], v[152:153]
	v_fma_f64 v[109:110], v[144:145], s[6:7], v[117:118]
	v_add_f64 v[136:137], v[138:139], -v[158:159]
	v_add_f64 v[113:114], v[97:98], v[113:114]
	v_fma_f64 v[146:147], v[99:100], s[8:9], v[101:102]
	v_fma_f64 v[66:67], v[103:104], -0.5, v[66:67]
	v_add_f64 v[101:102], v[138:139], v[158:159]
	v_fma_f64 v[142:143], v[111:112], s[8:9], v[105:106]
	v_fma_f64 v[84:85], v[111:112], s[8:9], v[84:85]
	;; [unrolled: 1-line block ×3, first 2 shown]
	v_add_f64 v[95:96], v[107:108], v[156:157]
	v_fma_f64 v[97:98], v[136:137], s[0:1], v[109:110]
	v_add_f64 v[99:100], v[140:141], -v[152:153]
	v_add_f64 v[103:104], v[160:161], -v[156:157]
	v_fma_f64 v[105:106], v[144:145], s[14:15], v[117:118]
	v_fma_f64 v[107:108], v[136:137], s[14:15], v[66:67]
	v_add_f64 v[109:110], v[152:153], -v[140:141]
	v_add_f64 v[111:112], v[156:157], -v[160:161]
	v_fma_f64 v[66:67], v[136:137], s[6:7], v[66:67]
	v_add_f64 v[117:118], v[115:116], v[134:135]
	v_fma_f64 v[101:102], v[101:102], -0.5, v[115:116]
	v_add_f64 v[140:141], v[140:141], -v[160:161]
	v_add_f64 v[99:100], v[99:100], v[103:104]
	v_fma_f64 v[103:104], v[136:137], s[16:17], v[105:106]
	v_fma_f64 v[105:106], v[144:145], s[0:1], v[107:108]
	v_add_f64 v[107:108], v[109:110], v[111:112]
	v_fma_f64 v[66:67], v[144:145], s[16:17], v[66:67]
	v_add_f64 v[109:110], v[134:135], v[154:155]
	v_add_f64 v[111:112], v[117:118], v[138:139]
	v_fma_f64 v[117:118], v[140:141], s[14:15], v[101:102]
	v_add_f64 v[136:137], v[152:153], -v[156:157]
	v_fma_f64 v[97:98], v[99:100], s[8:9], v[97:98]
	v_fma_f64 v[99:100], v[99:100], s[8:9], v[103:104]
	;; [unrolled: 1-line block ×4, first 2 shown]
	v_fma_f64 v[105:106], v[109:110], -0.5, v[115:116]
	v_add_f64 v[107:108], v[111:112], v[158:159]
	v_add_f64 v[111:112], v[134:135], -v[138:139]
	v_fma_f64 v[109:110], v[136:137], s[16:17], v[117:118]
	v_add_f64 v[115:116], v[168:169], v[170:171]
	v_add_f64 v[117:118], v[154:155], -v[158:159]
	v_fma_f64 v[101:102], v[140:141], s[6:7], v[101:102]
	v_add_f64 v[134:135], v[138:139], -v[134:135]
	v_add_f64 v[138:139], v[158:159], -v[154:155]
	v_fma_f64 v[144:145], v[136:137], s[6:7], v[105:106]
	v_fma_f64 v[105:106], v[136:137], s[14:15], v[105:106]
	v_add_f64 v[150:151], v[64:65], v[164:165]
	v_fma_f64 v[115:116], v[115:116], -0.5, v[64:65]
	v_add_f64 v[152:153], v[166:167], -v[176:177]
	v_add_f64 v[111:112], v[111:112], v[117:118]
	v_fma_f64 v[101:102], v[136:137], s[0:1], v[101:102]
	v_add_f64 v[134:135], v[134:135], v[138:139]
	v_add_f64 v[138:139], v[164:165], v[174:175]
	v_fma_f64 v[117:118], v[140:141], s[16:17], v[144:145]
	v_fma_f64 v[105:106], v[140:141], s[0:1], v[105:106]
	v_add_f64 v[136:137], v[150:151], v[168:169]
	v_fma_f64 v[140:141], v[152:153], s[6:7], v[115:116]
	v_add_f64 v[144:145], v[162:163], -v[172:173]
	v_add_f64 v[150:151], v[107:108], v[154:155]
	v_fma_f64 v[154:155], v[111:112], s[8:9], v[109:110]
	v_fma_f64 v[156:157], v[111:112], s[8:9], v[101:102]
	v_fma_f64 v[64:65], v[138:139], -0.5, v[64:65]
	v_add_f64 v[109:110], v[42:43], v[166:167]
	v_add_f64 v[111:112], v[162:163], v[172:173]
	;; [unrolled: 1-line block ×3, first 2 shown]
	v_fma_f64 v[117:118], v[134:135], s[8:9], v[117:118]
	v_fma_f64 v[134:135], v[134:135], s[8:9], v[105:106]
	v_add_f64 v[101:102], v[136:137], v[170:171]
	v_fma_f64 v[105:106], v[144:145], s[0:1], v[140:141]
	v_add_f64 v[107:108], v[164:165], -v[168:169]
	v_add_f64 v[136:137], v[174:175], -v[170:171]
	v_fma_f64 v[115:116], v[152:153], s[14:15], v[115:116]
	v_fma_f64 v[138:139], v[144:145], s[14:15], v[64:65]
	v_add_f64 v[140:141], v[168:169], -v[164:165]
	v_add_f64 v[158:159], v[170:171], -v[174:175]
	v_fma_f64 v[64:65], v[144:145], s[6:7], v[64:65]
	v_add_f64 v[109:110], v[109:110], v[162:163]
	v_fma_f64 v[111:112], v[111:112], -0.5, v[42:43]
	v_add_f64 v[160:161], v[164:165], -v[174:175]
	v_add_f64 v[107:108], v[107:108], v[136:137]
	v_fma_f64 v[115:116], v[144:145], s[16:17], v[115:116]
	v_fma_f64 v[136:137], v[152:153], s[0:1], v[138:139]
	v_add_f64 v[138:139], v[140:141], v[158:159]
	v_fma_f64 v[64:65], v[152:153], s[16:17], v[64:65]
	v_add_f64 v[109:110], v[109:110], v[172:173]
	v_add_f64 v[140:141], v[166:167], v[176:177]
	v_fma_f64 v[144:145], v[160:161], s[14:15], v[111:112]
	v_add_f64 v[152:153], v[168:169], -v[170:171]
	v_fma_f64 v[105:106], v[107:108], s[8:9], v[105:106]
	v_fma_f64 v[107:108], v[107:108], s[8:9], v[115:116]
	;; [unrolled: 1-line block ×4, first 2 shown]
	v_add_f64 v[136:137], v[109:110], v[176:177]
	v_fma_f64 v[42:43], v[140:141], -0.5, v[42:43]
	v_add_f64 v[138:139], v[166:167], -v[162:163]
	v_fma_f64 v[109:110], v[152:153], s[16:17], v[144:145]
	v_add_f64 v[140:141], v[176:177], -v[172:173]
	v_add_f64 v[144:145], v[62:63], v[48:49]
	v_fma_f64 v[111:112], v[160:161], s[6:7], v[111:112]
	v_add_f64 v[158:159], v[46:47], v[178:179]
	v_add_f64 v[162:163], v[162:163], -v[166:167]
	v_fma_f64 v[164:165], v[152:153], s[6:7], v[42:43]
	v_add_f64 v[166:167], v[172:173], -v[176:177]
	v_fma_f64 v[42:43], v[152:153], s[14:15], v[42:43]
	v_add_f64 v[138:139], v[138:139], v[140:141]
	v_add_f64 v[140:141], v[144:145], v[46:47]
	v_fma_f64 v[111:112], v[152:153], s[0:1], v[111:112]
	v_fma_f64 v[144:145], v[158:159], -0.5, v[62:63]
	v_add_f64 v[152:153], v[12:13], -v[52:53]
	v_fma_f64 v[158:159], v[160:161], s[16:17], v[164:165]
	v_add_f64 v[162:163], v[162:163], v[166:167]
	v_fma_f64 v[42:43], v[160:161], s[0:1], v[42:43]
	v_add_f64 v[160:161], v[48:49], v[180:181]
	v_add_f64 v[140:141], v[140:141], v[178:179]
	v_fma_f64 v[164:165], v[138:139], s[8:9], v[109:110]
	v_fma_f64 v[138:139], v[138:139], s[8:9], v[111:112]
	;; [unrolled: 1-line block ×3, first 2 shown]
	v_add_f64 v[111:112], v[26:27], -v[50:51]
	v_fma_f64 v[158:159], v[162:163], s[8:9], v[158:159]
	v_fma_f64 v[162:163], v[162:163], s[8:9], v[42:43]
	v_fma_f64 v[42:43], v[160:161], -0.5, v[62:63]
	v_add_f64 v[62:63], v[140:141], v[180:181]
	v_add_f64 v[140:141], v[48:49], -v[46:47]
	v_add_f64 v[160:161], v[180:181], -v[178:179]
	v_fma_f64 v[144:145], v[152:153], s[14:15], v[144:145]
	v_add_f64 v[166:167], v[40:41], v[12:13]
	v_add_f64 v[168:169], v[26:27], v[50:51]
	;; [unrolled: 1-line block ×3, first 2 shown]
	v_fma_f64 v[109:110], v[111:112], s[0:1], v[109:110]
	v_fma_f64 v[170:171], v[111:112], s[14:15], v[42:43]
	v_add_f64 v[172:173], v[46:47], -v[48:49]
	v_add_f64 v[174:175], v[178:179], -v[180:181]
	v_add_f64 v[140:141], v[140:141], v[160:161]
	v_fma_f64 v[144:145], v[111:112], s[16:17], v[144:145]
	v_fma_f64 v[42:43], v[111:112], s[6:7], v[42:43]
	v_add_f64 v[111:112], v[166:167], v[26:27]
	v_fma_f64 v[160:161], v[168:169], -0.5, v[40:41]
	v_add_f64 v[48:49], v[48:49], -v[180:181]
	v_fma_f64 v[166:167], v[152:153], s[0:1], v[170:171]
	v_add_f64 v[168:169], v[172:173], v[174:175]
	v_fma_f64 v[109:110], v[140:141], s[8:9], v[109:110]
	v_fma_f64 v[140:141], v[140:141], s[8:9], v[144:145]
	;; [unrolled: 1-line block ×3, first 2 shown]
	v_add_f64 v[111:112], v[111:112], v[50:51]
	v_add_f64 v[144:145], v[12:13], v[52:53]
	v_fma_f64 v[152:153], v[48:49], s[14:15], v[160:161]
	v_add_f64 v[46:47], v[46:47], -v[178:179]
	v_add_f64 v[170:171], v[8:9], v[28:29]
	v_fma_f64 v[166:167], v[168:169], s[8:9], v[166:167]
	v_add_f64 v[172:173], v[12:13], -v[26:27]
	v_add_f64 v[174:175], v[52:53], -v[50:51]
	v_fma_f64 v[42:43], v[168:169], s[8:9], v[42:43]
	v_fma_f64 v[40:41], v[144:145], -0.5, v[40:41]
	v_add_f64 v[144:145], v[111:112], v[52:53]
	v_fma_f64 v[111:112], v[46:47], s[16:17], v[152:153]
	v_add_f64 v[152:153], v[60:61], v[10:11]
	v_fma_f64 v[168:169], v[170:171], -0.5, v[60:61]
	v_add_f64 v[170:171], v[6:7], -v[0:1]
	v_fma_f64 v[160:161], v[48:49], s[6:7], v[160:161]
	v_add_f64 v[172:173], v[172:173], v[174:175]
	v_fma_f64 v[174:175], v[46:47], s[6:7], v[40:41]
	v_add_f64 v[12:13], v[26:27], -v[12:13]
	v_add_f64 v[26:27], v[50:51], -v[52:53]
	v_fma_f64 v[40:41], v[46:47], s[14:15], v[40:41]
	v_add_f64 v[50:51], v[152:153], v[8:9]
	v_fma_f64 v[52:53], v[170:171], s[6:7], v[168:169]
	v_add_f64 v[152:153], v[14:15], -v[4:5]
	v_add_f64 v[176:177], v[10:11], -v[8:9]
	;; [unrolled: 1-line block ×3, first 2 shown]
	v_fma_f64 v[46:47], v[46:47], s[0:1], v[160:161]
	v_add_f64 v[160:161], v[10:11], v[30:31]
	v_fma_f64 v[174:175], v[48:49], s[16:17], v[174:175]
	v_add_f64 v[12:13], v[12:13], v[26:27]
	;; [unrolled: 2-line block ×4, first 2 shown]
	v_fma_f64 v[176:177], v[172:173], s[8:9], v[111:112]
	v_fma_f64 v[52:53], v[160:161], -0.5, v[60:61]
	v_fma_f64 v[60:61], v[172:173], s[8:9], v[46:47]
	v_fma_f64 v[160:161], v[12:13], s[8:9], v[174:175]
	;; [unrolled: 1-line block ×3, first 2 shown]
	v_add_f64 v[12:13], v[40:41], v[30:31]
	v_add_f64 v[26:27], v[14:15], v[4:5]
	v_fma_f64 v[40:41], v[50:51], s[8:9], v[48:49]
	v_fma_f64 v[46:47], v[170:171], s[14:15], v[168:169]
	;; [unrolled: 1-line block ×3, first 2 shown]
	v_add_f64 v[168:169], v[6:7], v[0:1]
	s_waitcnt lgkmcnt(0)
	v_add_f64 v[178:179], v[2:3], v[6:7]
	v_add_f64 v[111:112], v[8:9], -v[10:11]
	v_add_f64 v[174:175], v[28:29], -v[30:31]
	v_fma_f64 v[26:27], v[26:27], -0.5, v[2:3]
	v_add_f64 v[10:11], v[10:11], -v[30:31]
	v_fma_f64 v[30:31], v[152:153], s[16:17], v[46:47]
	v_fma_f64 v[46:47], v[170:171], s[0:1], v[48:49]
	v_add_f64 v[8:9], v[8:9], -v[28:29]
	v_fma_f64 v[2:3], v[168:169], -0.5, v[2:3]
	v_fma_f64 v[48:49], v[152:153], s[6:7], v[52:53]
	v_add_f64 v[52:53], v[178:179], v[14:15]
	v_add_f64 v[28:29], v[111:112], v[174:175]
	v_fma_f64 v[111:112], v[10:11], s[14:15], v[26:27]
	v_add_f64 v[152:153], v[6:7], -v[14:15]
	v_add_f64 v[168:169], v[0:1], -v[4:5]
	v_fma_f64 v[26:27], v[10:11], s[6:7], v[26:27]
	v_fma_f64 v[174:175], v[8:9], s[6:7], v[2:3]
	v_add_f64 v[6:7], v[14:15], -v[6:7]
	v_add_f64 v[14:15], v[4:5], -v[0:1]
	v_fma_f64 v[2:3], v[8:9], s[14:15], v[2:3]
	v_fma_f64 v[48:49], v[170:171], s[16:17], v[48:49]
	v_add_f64 v[4:5], v[52:53], v[4:5]
	v_fma_f64 v[52:53], v[8:9], s[16:17], v[111:112]
	v_add_f64 v[111:112], v[152:153], v[168:169]
	v_fma_f64 v[8:9], v[8:9], s[0:1], v[26:27]
	v_fma_f64 v[26:27], v[10:11], s[16:17], v[174:175]
	v_add_f64 v[6:7], v[6:7], v[14:15]
	v_fma_f64 v[2:3], v[10:11], s[0:1], v[2:3]
	v_fma_f64 v[10:11], v[50:51], s[8:9], v[30:31]
	;; [unrolled: 1-line block ×4, first 2 shown]
	v_mov_b32_e32 v28, 3
	v_add_f64 v[152:153], v[4:5], v[0:1]
	v_mul_u32_u24_e32 v0, 0x190, v54
	v_lshlrev_b32_sdwa v1, v28, v55 dst_sel:DWORD dst_unused:UNUSED_PAD src0_sel:DWORD src1_sel:BYTE_0
	v_add3_u32 v31, 0, v0, v1
	v_mul_u32_u24_e32 v0, 0x190, v56
	v_lshlrev_b32_e32 v1, 3, v57
	s_barrier
	ds_write2_b64 v31, v[32:33], v[36:37] offset1:10
	ds_write2_b64 v31, v[38:39], v[44:45] offset0:20 offset1:30
	ds_write_b64 v31, v[34:35] offset:320
	v_add3_u32 v32, 0, v0, v1
	v_mul_u32_u24_e32 v0, 0x190, v58
	v_lshlrev_b32_e32 v1, 3, v59
	v_add3_u32 v33, 0, v0, v1
	v_mul_u32_u24_e32 v0, 0x190, v76
	v_lshlrev_b32_e32 v1, 3, v77
	;; [unrolled: 3-line block ×4, first 2 shown]
	ds_write2_b64 v32, v[70:71], v[72:73] offset1:10
	ds_write2_b64 v32, v[93:94], v[68:69] offset0:20 offset1:30
	ds_write_b64 v32, v[82:83] offset:320
	ds_write2_b64 v33, v[95:96], v[97:98] offset1:10
	ds_write2_b64 v33, v[103:104], v[66:67] offset0:20 offset1:30
	ds_write_b64 v33, v[99:100] offset:320
	;; [unrolled: 3-line block ×4, first 2 shown]
	v_add3_u32 v36, 0, v0, v1
	v_add_u32_e32 v93, 0x2800, v74
	v_add_u32_e32 v94, 0x5400, v74
	;; [unrolled: 1-line block ×10, first 2 shown]
	v_fma_f64 v[168:169], v[111:112], s[8:9], v[52:53]
	v_fma_f64 v[170:171], v[111:112], s[8:9], v[8:9]
	;; [unrolled: 1-line block ×4, first 2 shown]
	ds_write2_b64 v36, v[12:13], v[40:41] offset1:10
	ds_write2_b64 v36, v[14:15], v[29:30] offset0:20 offset1:30
	ds_write_b64 v36, v[10:11] offset:320
	s_waitcnt lgkmcnt(0)
	s_barrier
	ds_read_b64 v[53:54], v74
	ds_read2_b64 v[41:44], v93 offset0:70 offset1:205
	ds_read2_b64 v[45:48], v94 offset0:12 offset1:147
	ds_read_b64 v[26:27], v86
	ds_read_b64 v[14:15], v87
	ds_read2_b64 v[49:52], v95 offset0:84 offset1:219
	ds_read2_b64 v[67:70], v96 offset0:26 offset1:161
	;; [unrolled: 1-line block ×4, first 2 shown]
	ds_read_b64 v[10:11], v91
	ds_read_b64 v[12:13], v75
	;; [unrolled: 1-line block ×3, first 2 shown]
	ds_read2_b64 v[97:100], v57 offset0:112 offset1:247
	ds_read2_b64 v[101:104], v56 offset0:54 offset1:189
	v_lshl_add_u32 v58, v130, 3, 0
	v_lshl_add_u32 v59, v133, 3, 0
	ds_read2_b64 v[105:108], v62 offset0:62 offset1:197
	ds_read2_b64 v[109:112], v63 offset0:68 offset1:203
	v_lshl_add_u32 v66, v128, 3, 0
	ds_read_b64 v[8:9], v92
	ds_read_b64 v[4:5], v58
	;; [unrolled: 1-line block ×4, first 2 shown]
	s_waitcnt lgkmcnt(0)
	s_barrier
	ds_write2_b64 v31, v[16:17], v[20:21] offset1:10
	ds_write2_b64 v31, v[22:23], v[24:25] offset0:20 offset1:30
	ds_write_b64 v31, v[18:19] offset:320
	ds_write2_b64 v32, v[113:114], v[142:143] offset1:10
	ds_write2_b64 v32, v[146:147], v[148:149] offset0:20 offset1:30
	ds_write_b64 v32, v[84:85] offset:320
	;; [unrolled: 3-line block ×6, first 2 shown]
	v_mov_b32_e32 v16, 41
	v_mul_lo_u16_sdwa v16, v124, v16 dst_sel:DWORD dst_unused:UNUSED_PAD src0_sel:BYTE_0 src1_sel:DWORD
	v_lshrrev_b16_e32 v16, 11, v16
	v_mul_lo_u16_e32 v17, 50, v16
	v_sub_u16_e32 v17, v124, v17
	v_mov_b32_e32 v18, 5
	v_lshlrev_b32_sdwa v18, v18, v17 dst_sel:DWORD dst_unused:UNUSED_PAD src0_sel:DWORD src1_sel:BYTE_0
	s_waitcnt lgkmcnt(0)
	s_barrier
	global_load_dwordx4 v[113:116], v18, s[12:13] offset:640
	global_load_dwordx4 v[134:137], v18, s[12:13] offset:656
	v_lshrrev_b16_e32 v18, 1, v129
	v_mul_u32_u24_e32 v18, 0x147b, v18
	v_lshrrev_b32_e32 v29, 17, v18
	v_mul_lo_u16_e32 v18, 50, v29
	v_sub_u16_e32 v30, v129, v18
	v_lshlrev_b32_e32 v18, 5, v30
	ds_read_b64 v[60:61], v74
	global_load_dwordx4 v[138:141], v18, s[12:13] offset:656
	global_load_dwordx4 v[142:145], v18, s[12:13] offset:640
	v_lshrrev_b16_e32 v18, 1, v132
	v_mul_u32_u24_e32 v19, 0x147b, v18
	v_lshrrev_b32_e32 v31, 17, v19
	v_mul_lo_u16_e32 v19, 50, v31
	v_sub_u16_e32 v32, v132, v19
	v_lshlrev_b32_e32 v19, 5, v32
	global_load_dwordx4 v[146:149], v19, s[12:13] offset:656
	global_load_dwordx4 v[150:153], v19, s[12:13] offset:640
	v_lshrrev_b16_e32 v19, 1, v125
	v_mul_u32_u24_e32 v20, 0x147b, v19
	v_lshrrev_b32_e32 v33, 17, v20
	v_mul_lo_u16_e32 v20, 50, v33
	v_sub_u16_e32 v34, v125, v20
	v_lshlrev_b32_e32 v20, 5, v34
	;; [unrolled: 8-line block ×3, first 2 shown]
	ds_read2_b64 v[162:165], v93 offset0:70 offset1:205
	ds_read2_b64 v[166:169], v94 offset0:12 offset1:147
	ds_read_b64 v[71:72], v86
	ds_read_b64 v[84:85], v87
	global_load_dwordx4 v[170:173], v21, s[12:13] offset:656
	global_load_dwordx4 v[174:177], v21, s[12:13] offset:640
	v_lshrrev_b16_e32 v21, 1, v131
	v_mul_u32_u24_e32 v22, 0x147b, v21
	v_lshrrev_b32_e32 v37, 17, v22
	v_mul_lo_u16_e32 v22, 50, v37
	v_sub_u16_e32 v38, v131, v22
	v_lshlrev_b32_e32 v22, 5, v38
	v_lshrrev_b16_e32 v23, 1, v126
	ds_read2_b64 v[178:181], v95 offset0:84 offset1:219
	ds_read2_b64 v[182:185], v96 offset0:26 offset1:161
	global_load_dwordx4 v[186:189], v22, s[12:13] offset:656
	global_load_dwordx4 v[190:193], v22, s[12:13] offset:640
	v_mul_u32_u24_e32 v22, 0x147b, v23
	v_lshrrev_b32_e32 v39, 17, v22
	v_mul_lo_u16_e32 v22, 50, v39
	v_sub_u16_e32 v40, v126, v22
	v_lshlrev_b32_e32 v22, 5, v40
	global_load_dwordx4 v[194:197], v22, s[12:13] offset:656
	global_load_dwordx4 v[198:201], v22, s[12:13] offset:640
	v_lshrrev_b16_e32 v22, 1, v130
	v_mul_u32_u24_e32 v24, 0x147b, v22
	v_lshrrev_b32_e32 v55, 17, v24
	v_mul_lo_u16_e32 v24, 50, v55
	v_sub_u16_e32 v73, v130, v24
	v_lshlrev_b32_e32 v24, 5, v73
	global_load_dwordx4 v[202:205], v24, s[12:13] offset:656
	global_load_dwordx4 v[206:209], v24, s[12:13] offset:640
	v_lshrrev_b16_e32 v24, 1, v133
	;; [unrolled: 8-line block ×3, first 2 shown]
	ds_read2_b64 v[218:221], v64 offset0:98 offset1:233
	s_mov_b32 s6, 0xe8584caa
	s_mov_b32 s7, 0xbfebb67a
	;; [unrolled: 1-line block ×4, first 2 shown]
	v_mul_u32_u24_e32 v16, 0x4b0, v16
	v_lshlrev_b32_sdwa v17, v28, v17 dst_sel:DWORD dst_unused:UNUSED_PAD src0_sel:DWORD src1_sel:BYTE_0
	v_add3_u32 v28, 0, v16, v17
	v_mul_u32_u24_e32 v16, 0x4b0, v29
	v_lshlrev_b32_e32 v17, 3, v30
	v_add3_u32 v29, 0, v16, v17
	v_mul_u32_u24_e32 v16, 0x4b0, v31
	v_lshlrev_b32_e32 v17, 3, v32
	v_mul_u32_u24_e32 v18, 0xda75, v18
	v_lshrrev_b32_e32 v18, 22, v18
	v_mul_u32_u24_e32 v19, 0xda75, v19
	v_lshrrev_b32_e32 v19, 22, v19
	v_mul_u32_u24_e32 v20, 0xda75, v20
	s_waitcnt vmcnt(17) lgkmcnt(6)
	v_mul_f64 v[230:231], v[162:163], v[115:116]
	v_mul_f64 v[232:233], v[41:42], v[115:116]
	v_mul_u32_u24_e32 v115, 0x147b, v25
	v_lshrrev_b32_e32 v247, 17, v115
	v_mul_lo_u16_e32 v115, 50, v247
	v_sub_u16_e32 v248, v128, v115
	v_lshlrev_b32_e32 v222, 5, v248
	global_load_dwordx4 v[115:118], v222, s[12:13] offset:656
	s_nop 0
	global_load_dwordx4 v[222:225], v222, s[12:13] offset:640
	s_waitcnt vmcnt(18) lgkmcnt(5)
	v_mul_f64 v[234:235], v[166:167], v[136:137]
	v_fma_f64 v[242:243], v[41:42], v[113:114], v[230:231]
	s_waitcnt vmcnt(16)
	v_mul_f64 v[41:42], v[164:165], v[144:145]
	v_mul_f64 v[144:145], v[43:44], v[144:145]
	v_fma_f64 v[113:114], v[162:163], v[113:114], -v[232:233]
	v_mul_f64 v[136:137], v[45:46], v[136:137]
	ds_read2_b64 v[226:229], v65 offset0:40 offset1:175
	ds_read_b64 v[236:237], v91
	ds_read_b64 v[238:239], v75
	;; [unrolled: 1-line block ×3, first 2 shown]
	v_fma_f64 v[162:163], v[45:46], v[134:135], v[234:235]
	v_mul_f64 v[45:46], v[168:169], v[140:141]
	v_fma_f64 v[234:235], v[43:44], v[142:143], v[41:42]
	v_fma_f64 v[142:143], v[164:165], v[142:143], -v[144:145]
	s_waitcnt vmcnt(14) lgkmcnt(6)
	v_mul_f64 v[144:145], v[178:179], v[152:153]
	v_mul_f64 v[140:141], v[47:48], v[140:141]
	;; [unrolled: 1-line block ×3, first 2 shown]
	s_waitcnt vmcnt(12)
	v_mul_f64 v[244:245], v[180:181], v[160:161]
	v_mul_f64 v[160:161], v[51:52], v[160:161]
	v_fma_f64 v[164:165], v[47:48], v[138:139], v[45:46]
	ds_read2_b64 v[230:233], v57 offset0:112 offset1:247
	v_fma_f64 v[166:167], v[166:167], v[134:135], -v[136:137]
	v_fma_f64 v[49:50], v[49:50], v[150:151], v[144:145]
	s_waitcnt lgkmcnt(6)
	v_mul_f64 v[144:145], v[182:183], v[148:149]
	v_mul_f64 v[148:149], v[67:68], v[148:149]
	v_fma_f64 v[138:139], v[168:169], v[138:139], -v[140:141]
	v_fma_f64 v[140:141], v[178:179], v[150:151], -v[152:153]
	v_fma_f64 v[51:52], v[51:52], v[158:159], v[244:245]
	v_fma_f64 v[150:151], v[180:181], v[158:159], -v[160:161]
	v_mul_f64 v[152:153], v[184:185], v[156:157]
	v_mul_f64 v[156:157], v[69:70], v[156:157]
	s_waitcnt vmcnt(10) lgkmcnt(5)
	v_mul_f64 v[158:159], v[218:219], v[176:177]
	v_mul_f64 v[176:177], v[76:77], v[176:177]
	v_fma_f64 v[67:68], v[67:68], v[146:147], v[144:145]
	v_fma_f64 v[144:145], v[182:183], v[146:147], -v[148:149]
	s_waitcnt lgkmcnt(4)
	v_mul_f64 v[146:147], v[226:227], v[172:173]
	ds_read2_b64 v[134:137], v56 offset0:54 offset1:189
	v_fma_f64 v[69:70], v[69:70], v[154:155], v[152:153]
	v_fma_f64 v[148:149], v[184:185], v[154:155], -v[156:157]
	v_fma_f64 v[76:77], v[76:77], v[174:175], v[158:159]
	v_mul_f64 v[152:153], v[80:81], v[172:173]
	v_fma_f64 v[154:155], v[218:219], v[174:175], -v[176:177]
	s_waitcnt vmcnt(8)
	v_mul_f64 v[156:157], v[220:221], v[192:193]
	v_mul_f64 v[158:159], v[78:79], v[192:193]
	v_fma_f64 v[80:81], v[80:81], v[170:171], v[146:147]
	v_mul_f64 v[146:147], v[228:229], v[188:189]
	v_mul_f64 v[172:173], v[82:83], v[188:189]
	s_waitcnt vmcnt(6) lgkmcnt(1)
	v_mul_f64 v[174:175], v[230:231], v[200:201]
	ds_read2_b64 v[41:44], v62 offset0:62 offset1:197
	v_fma_f64 v[152:153], v[226:227], v[170:171], -v[152:153]
	v_mul_f64 v[170:171], v[97:98], v[200:201]
	v_fma_f64 v[78:79], v[78:79], v[190:191], v[156:157]
	v_fma_f64 v[156:157], v[220:221], v[190:191], -v[158:159]
	s_waitcnt lgkmcnt(1)
	v_mul_f64 v[158:159], v[134:135], v[196:197]
	v_fma_f64 v[82:83], v[82:83], v[186:187], v[146:147]
	v_fma_f64 v[146:147], v[228:229], v[186:187], -v[172:173]
	v_fma_f64 v[97:98], v[97:98], v[198:199], v[174:175]
	v_mul_f64 v[172:173], v[101:102], v[196:197]
	s_waitcnt vmcnt(4)
	v_mul_f64 v[174:175], v[232:233], v[208:209]
	v_mul_f64 v[176:177], v[99:100], v[208:209]
	s_waitcnt vmcnt(2) lgkmcnt(0)
	v_mul_f64 v[184:185], v[41:42], v[216:217]
	ds_read2_b64 v[45:48], v63 offset0:68 offset1:203
	v_fma_f64 v[101:102], v[101:102], v[194:195], v[158:159]
	v_mul_f64 v[158:159], v[136:137], v[204:205]
	v_mul_f64 v[182:183], v[103:104], v[204:205]
	v_fma_f64 v[134:135], v[134:135], v[194:195], -v[172:173]
	v_mul_f64 v[172:173], v[105:106], v[216:217]
	v_fma_f64 v[99:100], v[99:100], v[206:207], v[174:175]
	v_fma_f64 v[174:175], v[232:233], v[206:207], -v[176:177]
	s_waitcnt lgkmcnt(0)
	v_mul_f64 v[176:177], v[45:46], v[212:213]
	v_fma_f64 v[105:106], v[105:106], v[214:215], v[184:185]
	v_fma_f64 v[103:104], v[103:104], v[202:203], v[158:159]
	v_fma_f64 v[136:137], v[136:137], v[202:203], -v[182:183]
	v_mul_f64 v[158:159], v[109:110], v[212:213]
	v_fma_f64 v[41:42], v[41:42], v[214:215], -v[172:173]
	v_add_f64 v[182:183], v[242:243], v[162:163]
	ds_read_b64 v[160:161], v92
	ds_read_b64 v[168:169], v58
	;; [unrolled: 1-line block ×4, first 2 shown]
	v_fma_f64 v[109:110], v[109:110], v[210:211], v[176:177]
	v_fma_f64 v[170:171], v[230:231], v[198:199], -v[170:171]
	s_waitcnt vmcnt(1) lgkmcnt(0)
	v_mul_f64 v[184:185], v[47:48], v[117:118]
	v_mul_f64 v[117:118], v[111:112], v[117:118]
	s_waitcnt vmcnt(0)
	v_mul_f64 v[172:173], v[43:44], v[224:225]
	v_mul_f64 v[176:177], v[107:108], v[224:225]
	v_fma_f64 v[45:46], v[45:46], v[210:211], -v[158:159]
	v_add_f64 v[158:159], v[53:54], v[242:243]
	v_fma_f64 v[53:54], v[182:183], -0.5, v[53:54]
	v_add_f64 v[190:191], v[105:106], v[109:110]
	v_fma_f64 v[111:112], v[111:112], v[115:116], v[184:185]
	v_fma_f64 v[47:48], v[47:48], v[115:116], -v[117:118]
	v_add_f64 v[115:116], v[113:114], v[166:167]
	v_fma_f64 v[107:108], v[107:108], v[222:223], v[172:173]
	v_add_f64 v[172:173], v[113:114], -v[166:167]
	v_fma_f64 v[43:44], v[43:44], v[222:223], -v[176:177]
	v_add_f64 v[113:114], v[60:61], v[113:114]
	v_add_f64 v[176:177], v[234:235], v[164:165]
	;; [unrolled: 1-line block ×3, first 2 shown]
	s_barrier
	v_fma_f64 v[60:61], v[115:116], -0.5, v[60:61]
	v_add_f64 v[115:116], v[242:243], -v[162:163]
	v_fma_f64 v[158:159], v[172:173], s[6:7], v[53:54]
	v_fma_f64 v[53:54], v[172:173], s[8:9], v[53:54]
	v_add_f64 v[162:163], v[26:27], v[234:235]
	v_add_f64 v[113:114], v[113:114], v[166:167]
	v_add_f64 v[166:167], v[142:143], v[138:139]
	v_fma_f64 v[26:27], v[176:177], -0.5, v[26:27]
	v_add_f64 v[172:173], v[142:143], -v[138:139]
	v_fma_f64 v[176:177], v[115:116], s[8:9], v[60:61]
	v_fma_f64 v[60:61], v[115:116], s[6:7], v[60:61]
	v_add_f64 v[115:116], v[71:72], v[142:143]
	v_add_f64 v[142:143], v[162:163], v[164:165]
	v_add_f64 v[162:163], v[49:50], v[67:68]
	;; [unrolled: 7-line block ×7, first 2 shown]
	v_fma_f64 v[10:11], v[150:151], -0.5, v[10:11]
	v_add_f64 v[150:151], v[154:155], -v[152:153]
	v_fma_f64 v[184:185], v[51:52], s[8:9], v[144:145]
	v_fma_f64 v[144:145], v[51:52], s[6:7], v[144:145]
	v_add_f64 v[51:52], v[236:237], v[154:155]
	v_add_f64 v[154:155], v[162:163], v[80:81]
	v_add_f64 v[76:77], v[76:77], -v[80:81]
	v_fma_f64 v[49:50], v[49:50], -0.5, v[236:237]
	v_add_f64 v[162:163], v[78:79], v[82:83]
	v_fma_f64 v[80:81], v[150:151], s[6:7], v[10:11]
	v_fma_f64 v[10:11], v[150:151], s[8:9], v[10:11]
	v_add_f64 v[150:151], v[8:9], v[78:79]
	v_add_f64 v[152:153], v[51:52], v[152:153]
	;; [unrolled: 1-line block ×3, first 2 shown]
	v_add_f64 v[78:79], v[78:79], -v[82:83]
	v_fma_f64 v[186:187], v[76:77], s[8:9], v[49:50]
	v_fma_f64 v[188:189], v[76:77], s[6:7], v[49:50]
	v_add_f64 v[49:50], v[160:161], v[156:157]
	v_fma_f64 v[8:9], v[162:163], -0.5, v[8:9]
	v_add_f64 v[76:77], v[150:151], v[82:83]
	v_add_f64 v[150:151], v[97:98], v[101:102]
	v_add_f64 v[162:163], v[156:157], -v[146:147]
	v_fma_f64 v[51:52], v[51:52], -0.5, v[160:161]
	v_add_f64 v[156:157], v[6:7], v[97:98]
	v_add_f64 v[97:98], v[97:98], -v[101:102]
	v_add_f64 v[146:147], v[49:50], v[146:147]
	v_add_f64 v[49:50], v[170:171], v[134:135]
	v_fma_f64 v[6:7], v[150:151], -0.5, v[6:7]
	v_add_f64 v[150:151], v[170:171], -v[134:135]
	v_fma_f64 v[82:83], v[162:163], s[6:7], v[8:9]
	v_fma_f64 v[8:9], v[162:163], s[8:9], v[8:9]
	;; [unrolled: 1-line block ×3, first 2 shown]
	v_add_f64 v[162:163], v[240:241], v[170:171]
	v_fma_f64 v[170:171], v[78:79], s[6:7], v[51:52]
	v_add_f64 v[51:52], v[156:157], v[101:102]
	v_fma_f64 v[49:50], v[49:50], -0.5, v[240:241]
	v_fma_f64 v[101:102], v[150:151], s[6:7], v[6:7]
	v_fma_f64 v[6:7], v[150:151], s[8:9], v[6:7]
	v_add_f64 v[150:151], v[174:175], v[136:137]
	v_add_f64 v[78:79], v[99:100], v[103:104]
	;; [unrolled: 1-line block ×4, first 2 shown]
	v_add_f64 v[99:100], v[99:100], -v[103:104]
	v_fma_f64 v[162:163], v[97:98], s[8:9], v[49:50]
	v_fma_f64 v[192:193], v[97:98], s[6:7], v[49:50]
	v_add_f64 v[49:50], v[168:169], v[174:175]
	v_fma_f64 v[97:98], v[150:151], -0.5, v[168:169]
	v_fma_f64 v[4:5], v[78:79], -0.5, v[4:5]
	v_add_f64 v[78:79], v[174:175], -v[136:137]
	v_add_f64 v[103:104], v[156:157], v[103:104]
	v_add_f64 v[156:157], v[2:3], v[105:106]
	v_fma_f64 v[2:3], v[190:191], -0.5, v[2:3]
	v_add_f64 v[168:169], v[41:42], -v[45:46]
	v_add_f64 v[136:137], v[49:50], v[136:137]
	v_fma_f64 v[174:175], v[99:100], s[8:9], v[97:98]
	v_fma_f64 v[190:191], v[99:100], s[6:7], v[97:98]
	v_add_f64 v[97:98], v[107:108], v[111:112]
	v_fma_f64 v[150:151], v[78:79], s[6:7], v[4:5]
	v_fma_f64 v[4:5], v[78:79], s[8:9], v[4:5]
	v_add_f64 v[49:50], v[41:42], v[45:46]
	v_add_f64 v[78:79], v[156:157], v[109:110]
	;; [unrolled: 1-line block ×4, first 2 shown]
	v_add_f64 v[105:106], v[105:106], -v[109:110]
	v_add_f64 v[109:110], v[0:1], v[107:108]
	v_fma_f64 v[0:1], v[97:98], -0.5, v[0:1]
	v_add_f64 v[97:98], v[43:44], -v[47:48]
	ds_write2_b64 v28, v[117:118], v[158:159] offset1:50
	ds_write_b64 v28, v[53:54] offset:800
	ds_write2_b64 v29, v[142:143], v[166:167] offset1:50
	ds_write_b64 v29, v[26:27] offset:800
	v_add3_u32 v26, 0, v16, v17
	ds_write2_b64 v26, v[164:165], v[67:68] offset1:50
	ds_write_b64 v26, v[14:15] offset:800
	v_mul_u32_u24_e32 v14, 0x4b0, v33
	v_lshlrev_b32_e32 v15, 3, v34
	v_add3_u32 v27, 0, v14, v15
	ds_write2_b64 v27, v[138:139], v[69:70] offset1:50
	ds_write_b64 v27, v[12:13] offset:800
	v_mul_u32_u24_e32 v12, 0x4b0, v35
	v_lshlrev_b32_e32 v13, 3, v36
	v_add3_u32 v30, 0, v12, v13
	v_fma_f64 v[99:100], v[168:169], s[6:7], v[2:3]
	ds_write2_b64 v30, v[154:155], v[80:81] offset1:50
	ds_write_b64 v30, v[10:11] offset:800
	v_mul_u32_u24_e32 v10, 0x4b0, v37
	v_lshlrev_b32_e32 v11, 3, v38
	v_fma_f64 v[2:3], v[168:169], s[8:9], v[2:3]
	v_add3_u32 v67, 0, v10, v11
	v_fma_f64 v[49:50], v[49:50], -0.5, v[178:179]
	v_add_f64 v[43:44], v[180:181], v[43:44]
	v_fma_f64 v[156:157], v[156:157], -0.5, v[180:181]
	v_add_f64 v[107:108], v[107:108], -v[111:112]
	v_add_f64 v[168:169], v[41:42], v[45:46]
	v_add_f64 v[41:42], v[109:110], v[111:112]
	v_fma_f64 v[45:46], v[97:98], s[6:7], v[0:1]
	ds_write2_b64 v67, v[76:77], v[82:83] offset1:50
	ds_write_b64 v67, v[8:9] offset:800
	v_mul_u32_u24_e32 v8, 0x4b0, v39
	v_lshlrev_b32_e32 v9, 3, v40
	v_fma_f64 v[0:1], v[97:98], s[8:9], v[0:1]
	v_add3_u32 v68, 0, v8, v9
	ds_write2_b64 v68, v[51:52], v[101:102] offset1:50
	ds_write_b64 v68, v[6:7] offset:800
	v_mul_u32_u24_e32 v6, 0x4b0, v55
	v_lshlrev_b32_e32 v7, 3, v73
	v_add3_u32 v55, 0, v6, v7
	ds_write2_b64 v55, v[103:104], v[150:151] offset1:50
	ds_write_b64 v55, v[4:5] offset:800
	v_mul_u32_u24_e32 v4, 0x4b0, v119
	v_lshlrev_b32_e32 v5, 3, v246
	;; [unrolled: 5-line block ×3, first 2 shown]
	v_add3_u32 v70, 0, v2, v3
	v_fma_f64 v[178:179], v[105:106], s[8:9], v[49:50]
	v_fma_f64 v[105:106], v[105:106], s[6:7], v[49:50]
	v_add_f64 v[109:110], v[43:44], v[47:48]
	v_fma_f64 v[111:112], v[107:108], s[8:9], v[156:157]
	v_fma_f64 v[107:108], v[107:108], s[6:7], v[156:157]
	ds_write2_b64 v70, v[41:42], v[45:46] offset1:50
	ds_write_b64 v70, v[0:1] offset:800
	s_waitcnt lgkmcnt(0)
	s_barrier
	ds_read_b64 v[117:118], v74
	ds_read2_b64 v[31:34], v93 offset0:70 offset1:205
	ds_read2_b64 v[35:38], v94 offset0:12 offset1:147
	ds_read_b64 v[16:17], v86
	ds_read_b64 v[14:15], v87
	ds_read2_b64 v[39:42], v95 offset0:84 offset1:219
	ds_read2_b64 v[43:46], v96 offset0:26 offset1:161
	;; [unrolled: 1-line block ×4, first 2 shown]
	ds_read_b64 v[10:11], v91
	ds_read_b64 v[12:13], v75
	;; [unrolled: 1-line block ×3, first 2 shown]
	ds_read2_b64 v[76:79], v57 offset0:112 offset1:247
	ds_read2_b64 v[80:83], v56 offset0:54 offset1:189
	;; [unrolled: 1-line block ×4, first 2 shown]
	ds_read_b64 v[8:9], v92
	ds_read_b64 v[4:5], v58
	ds_read_b64 v[2:3], v59
	ds_read_b64 v[0:1], v66
	s_waitcnt lgkmcnt(0)
	s_barrier
	ds_write2_b64 v28, v[113:114], v[176:177] offset1:50
	ds_write_b64 v28, v[60:61] offset:800
	ds_write2_b64 v29, v[115:116], v[182:183] offset1:50
	ds_write_b64 v29, v[71:72] offset:800
	;; [unrolled: 2-line block ×10, first 2 shown]
	v_lshlrev_b32_e32 v60, 1, v124
	v_mov_b32_e32 v61, 0
	v_lshlrev_b64 v[26:27], 4, v[60:61]
	v_mov_b32_e32 v70, s13
	v_add_co_u32_e64 v68, s[0:1], s12, v26
	v_addc_co_u32_e64 v69, s[0:1], v70, v27, s[0:1]
	s_waitcnt lgkmcnt(0)
	s_barrier
	global_load_dwordx4 v[105:108], v[68:69], off offset:2256
	global_load_dwordx4 v[109:112], v[68:69], off offset:2240
	v_add_u32_e32 v26, -15, v124
	v_cmp_gt_u32_e64 s[0:1], 15, v124
	v_cndmask_b32_e64 v26, v26, v129, s[0:1]
	v_lshlrev_b32_e32 v27, 1, v26
	v_mov_b32_e32 v28, v61
	v_lshlrev_b64 v[27:28], 4, v[27:28]
	v_lshrrev_b32_e32 v20, 22, v20
	v_add_co_u32_e64 v27, s[0:1], s12, v27
	v_addc_co_u32_e64 v28, s[0:1], v70, v28, s[0:1]
	global_load_dwordx4 v[113:116], v[27:28], off offset:2240
	global_load_dwordx4 v[134:137], v[27:28], off offset:2256
	v_mul_lo_u16_e32 v27, 0x96, v18
	v_sub_u16_e32 v27, v132, v27
	v_lshlrev_b32_e32 v28, 5, v27
	ds_read_b64 v[71:72], v74
	ds_read2_b64 v[138:141], v93 offset0:70 offset1:205
	global_load_dwordx4 v[142:145], v28, s[12:13] offset:2256
	global_load_dwordx4 v[146:149], v28, s[12:13] offset:2240
	v_mul_lo_u16_e32 v28, 0x96, v19
	v_sub_u16_e32 v28, v125, v28
	v_lshlrev_b32_e32 v29, 5, v28
	ds_read2_b64 v[150:153], v94 offset0:12 offset1:147
	global_load_dwordx4 v[154:157], v29, s[12:13] offset:2256
	global_load_dwordx4 v[158:161], v29, s[12:13] offset:2240
	v_mul_lo_u16_e32 v29, 0x96, v20
	v_sub_u16_e32 v29, v127, v29
	v_mul_u32_u24_e32 v21, 0xda75, v21
	v_lshlrev_b32_e32 v30, 5, v29
	v_lshrrev_b32_e32 v21, 22, v21
	global_load_dwordx4 v[162:165], v30, s[12:13] offset:2256
	global_load_dwordx4 v[166:169], v30, s[12:13] offset:2240
	v_mul_lo_u16_e32 v30, 0x96, v21
	v_sub_u16_e32 v30, v131, v30
	v_lshlrev_b32_e32 v55, 5, v30
	v_mul_u32_u24_e32 v23, 0xda75, v23
	ds_read_b64 v[84:85], v86
	ds_read_b64 v[230:231], v87
	ds_read2_b64 v[170:173], v95 offset0:84 offset1:219
	global_load_dwordx4 v[174:177], v55, s[12:13] offset:2256
	global_load_dwordx4 v[178:181], v55, s[12:13] offset:2240
	v_lshrrev_b32_e32 v55, 22, v23
	v_mul_lo_u16_e32 v23, 0x96, v55
	v_sub_u16_e32 v67, v126, v23
	v_lshlrev_b32_e32 v23, 5, v67
	global_load_dwordx4 v[182:185], v23, s[12:13] offset:2256
	global_load_dwordx4 v[186:189], v23, s[12:13] offset:2240
	v_mul_u32_u24_e32 v22, 0xda75, v22
	v_lshrrev_b32_e32 v73, 22, v22
	v_mul_lo_u16_e32 v22, 0x96, v73
	v_sub_u16_e32 v119, v130, v22
	v_lshlrev_b32_e32 v22, 5, v119
	ds_read2_b64 v[190:193], v96 offset0:26 offset1:161
	global_load_dwordx4 v[194:197], v22, s[12:13] offset:2256
	global_load_dwordx4 v[198:201], v22, s[12:13] offset:2240
	v_mul_u32_u24_e32 v22, 0xda75, v24
	v_lshrrev_b32_e32 v242, 22, v22
	v_mul_lo_u16_e32 v22, 0x96, v242
	v_sub_u16_e32 v243, v133, v22
	v_lshlrev_b32_e32 v22, 5, v243
	global_load_dwordx4 v[202:205], v22, s[12:13] offset:2256
	global_load_dwordx4 v[206:209], v22, s[12:13] offset:2240
	v_mul_u32_u24_e32 v22, 0xda75, v25
	v_lshrrev_b32_e32 v22, 22, v22
	v_mul_lo_u16_e32 v22, 0x96, v22
	v_sub_u16_e32 v244, v128, v22
	v_lshlrev_b32_e32 v218, 5, v244
	ds_read2_b64 v[210:213], v64 offset0:98 offset1:233
	ds_read2_b64 v[214:217], v65 offset0:40 offset1:175
	global_load_dwordx4 v[22:25], v218, s[12:13] offset:2256
	s_nop 0
	global_load_dwordx4 v[218:221], v218, s[12:13] offset:2240
	ds_read_b64 v[234:235], v91
	ds_read_b64 v[236:237], v75
	;; [unrolled: 1-line block ×3, first 2 shown]
	ds_read2_b64 v[222:225], v57 offset0:112 offset1:247
	ds_read2_b64 v[226:229], v56 offset0:54 offset1:189
	v_cmp_lt_u32_e64 s[0:1], 14, v124
	s_movk_i32 s15, 0x1000
	s_movk_i32 s16, 0x1b80
	;; [unrolled: 1-line block ×4, first 2 shown]
	s_waitcnt vmcnt(19) lgkmcnt(11)
	v_mul_f64 v[240:241], v[150:151], v[107:108]
	s_waitcnt vmcnt(18)
	v_mul_f64 v[232:233], v[138:139], v[111:112]
	v_mul_f64 v[111:112], v[31:32], v[111:112]
	;; [unrolled: 1-line block ×3, first 2 shown]
	v_fma_f64 v[35:36], v[35:36], v[105:106], v[240:241]
	v_fma_f64 v[232:233], v[31:32], v[109:110], v[232:233]
	v_fma_f64 v[109:110], v[138:139], v[109:110], -v[111:112]
	v_fma_f64 v[138:139], v[150:151], v[105:106], -v[107:108]
	s_waitcnt vmcnt(17)
	v_mul_f64 v[31:32], v[140:141], v[115:116]
	v_mul_f64 v[111:112], v[33:34], v[115:116]
	s_waitcnt vmcnt(16)
	v_mul_f64 v[115:116], v[152:153], v[136:137]
	v_mul_f64 v[136:137], v[37:38], v[136:137]
	ds_read2_b64 v[105:108], v62 offset0:62 offset1:197
	v_fma_f64 v[150:151], v[33:34], v[113:114], v[31:32]
	v_fma_f64 v[111:112], v[140:141], v[113:114], -v[111:112]
	v_fma_f64 v[37:38], v[37:38], v[134:135], v[115:116]
	v_fma_f64 v[113:114], v[152:153], v[134:135], -v[136:137]
	s_waitcnt vmcnt(14) lgkmcnt(9)
	v_mul_f64 v[115:116], v[170:171], v[148:149]
	v_mul_f64 v[134:135], v[39:40], v[148:149]
	s_waitcnt lgkmcnt(8)
	v_mul_f64 v[136:137], v[190:191], v[144:145]
	v_mul_f64 v[140:141], v[43:44], v[144:145]
	ds_read2_b64 v[31:34], v63 offset0:68 offset1:203
	ds_read_b64 v[144:145], v92
	ds_read_b64 v[148:149], v58
	;; [unrolled: 1-line block ×4, first 2 shown]
	s_waitcnt vmcnt(0) lgkmcnt(0)
	s_barrier
	v_fma_f64 v[39:40], v[39:40], v[146:147], v[115:116]
	v_mul_f64 v[115:116], v[172:173], v[160:161]
	v_fma_f64 v[134:135], v[170:171], v[146:147], -v[134:135]
	v_mul_f64 v[146:147], v[41:42], v[160:161]
	v_fma_f64 v[43:44], v[43:44], v[142:143], v[136:137]
	v_mul_f64 v[136:137], v[192:193], v[156:157]
	v_fma_f64 v[140:141], v[190:191], v[142:143], -v[140:141]
	v_mul_f64 v[142:143], v[45:46], v[156:157]
	v_mul_f64 v[156:157], v[210:211], v[168:169]
	v_fma_f64 v[41:42], v[41:42], v[158:159], v[115:116]
	v_mul_f64 v[115:116], v[47:48], v[168:169]
	v_fma_f64 v[146:147], v[172:173], v[158:159], -v[146:147]
	v_mul_f64 v[158:159], v[214:215], v[164:165]
	v_fma_f64 v[45:46], v[45:46], v[154:155], v[136:137]
	v_mul_f64 v[136:137], v[51:52], v[164:165]
	v_fma_f64 v[142:143], v[192:193], v[154:155], -v[142:143]
	v_mul_f64 v[154:155], v[212:213], v[180:181]
	v_fma_f64 v[47:48], v[47:48], v[166:167], v[156:157]
	v_mul_f64 v[156:157], v[49:50], v[180:181]
	v_mul_f64 v[164:165], v[226:227], v[184:185]
	v_fma_f64 v[51:52], v[51:52], v[162:163], v[158:159]
	v_mul_f64 v[158:159], v[216:217], v[176:177]
	v_fma_f64 v[136:137], v[214:215], v[162:163], -v[136:137]
	v_mul_f64 v[162:163], v[222:223], v[188:189]
	v_fma_f64 v[49:50], v[49:50], v[178:179], v[154:155]
	v_mul_f64 v[154:155], v[76:77], v[188:189]
	v_fma_f64 v[115:116], v[210:211], v[166:167], -v[115:116]
	v_mul_f64 v[160:161], v[53:54], v[176:177]
	v_mul_f64 v[166:167], v[78:79], v[200:201]
	v_fma_f64 v[53:54], v[53:54], v[174:175], v[158:159]
	v_mul_f64 v[158:159], v[80:81], v[184:185]
	v_fma_f64 v[76:77], v[76:77], v[186:187], v[162:163]
	;; [unrolled: 2-line block ×3, first 2 shown]
	v_mul_f64 v[164:165], v[228:229], v[196:197]
	v_mul_f64 v[170:171], v[105:106], v[208:209]
	;; [unrolled: 1-line block ×4, first 2 shown]
	v_fma_f64 v[160:161], v[216:217], v[174:175], -v[160:161]
	v_fma_f64 v[156:157], v[212:213], v[178:179], -v[156:157]
	v_fma_f64 v[78:79], v[78:79], v[198:199], v[162:163]
	v_mul_f64 v[162:163], v[97:98], v[208:209]
	v_fma_f64 v[82:83], v[82:83], v[194:195], v[164:165]
	v_mul_f64 v[164:165], v[101:102], v[204:205]
	;; [unrolled: 2-line block ×3, first 2 shown]
	v_fma_f64 v[101:102], v[101:102], v[202:203], v[172:173]
	v_add_f64 v[172:173], v[232:233], v[35:36]
	v_fma_f64 v[154:155], v[222:223], v[186:187], -v[154:155]
	v_fma_f64 v[105:106], v[105:106], v[206:207], -v[162:163]
	v_mul_f64 v[162:163], v[99:100], v[220:221]
	v_fma_f64 v[31:32], v[31:32], v[202:203], -v[164:165]
	v_mul_f64 v[164:165], v[33:34], v[24:25]
	v_mul_f64 v[24:25], v[103:104], v[24:25]
	v_fma_f64 v[99:100], v[99:100], v[218:219], v[170:171]
	v_add_f64 v[170:171], v[117:118], v[232:233]
	v_fma_f64 v[117:118], v[172:173], -0.5, v[117:118]
	v_add_f64 v[172:173], v[109:110], -v[138:139]
	v_fma_f64 v[107:108], v[107:108], v[218:219], -v[162:163]
	v_add_f64 v[162:163], v[109:110], v[138:139]
	v_fma_f64 v[103:104], v[103:104], v[22:23], v[164:165]
	v_fma_f64 v[22:23], v[33:34], v[22:23], -v[24:25]
	v_add_f64 v[24:25], v[71:72], v[109:110]
	v_add_f64 v[33:34], v[170:171], v[35:36]
	;; [unrolled: 1-line block ×3, first 2 shown]
	v_add_f64 v[35:36], v[232:233], -v[35:36]
	v_add_f64 v[164:165], v[16:17], v[150:151]
	v_fma_f64 v[71:72], v[162:163], -0.5, v[71:72]
	v_fma_f64 v[162:163], v[172:173], s[6:7], v[117:118]
	v_fma_f64 v[117:118], v[172:173], s[8:9], v[117:118]
	v_add_f64 v[138:139], v[24:25], v[138:139]
	v_add_f64 v[24:25], v[111:112], v[113:114]
	v_fma_f64 v[16:17], v[109:110], -0.5, v[16:17]
	v_add_f64 v[109:110], v[111:112], -v[113:114]
	v_fma_f64 v[158:159], v[226:227], v[182:183], -v[158:159]
	v_fma_f64 v[170:171], v[35:36], s[8:9], v[71:72]
	v_fma_f64 v[71:72], v[35:36], s[6:7], v[71:72]
	v_add_f64 v[35:36], v[84:85], v[111:112]
	v_add_f64 v[111:112], v[164:165], v[37:38]
	v_add_f64 v[164:165], v[39:40], v[43:44]
	v_fma_f64 v[24:25], v[24:25], -0.5, v[84:85]
	v_add_f64 v[37:38], v[150:151], -v[37:38]
	v_fma_f64 v[84:85], v[109:110], s[6:7], v[16:17]
	v_fma_f64 v[16:17], v[109:110], s[8:9], v[16:17]
	v_add_f64 v[109:110], v[14:15], v[39:40]
	v_add_f64 v[113:114], v[35:36], v[113:114]
	v_add_f64 v[35:36], v[134:135], v[140:141]
	v_fma_f64 v[14:15], v[164:165], -0.5, v[14:15]
	v_add_f64 v[150:151], v[134:135], -v[140:141]
	;; [unrolled: 7-line block ×7, first 2 shown]
	v_add_f64 v[115:116], v[8:9], v[49:50]
	v_fma_f64 v[51:52], v[134:135], s[6:7], v[10:11]
	v_fma_f64 v[10:11], v[134:135], s[8:9], v[10:11]
	v_add_f64 v[134:135], v[24:25], v[136:137]
	v_add_f64 v[24:25], v[156:157], v[160:161]
	v_fma_f64 v[8:9], v[109:110], -0.5, v[8:9]
	v_add_f64 v[109:110], v[156:157], -v[160:161]
	v_fma_f64 v[136:137], v[47:48], s[8:9], v[35:36]
	v_fma_f64 v[178:179], v[47:48], s[6:7], v[35:36]
	v_add_f64 v[35:36], v[144:145], v[156:157]
	v_add_f64 v[47:48], v[115:116], v[53:54]
	;; [unrolled: 1-line block ×3, first 2 shown]
	v_fma_f64 v[166:167], v[224:225], v[198:199], -v[166:167]
	v_fma_f64 v[168:169], v[228:229], v[194:195], -v[168:169]
	v_fma_f64 v[24:25], v[24:25], -0.5, v[144:145]
	v_add_f64 v[49:50], v[49:50], -v[53:54]
	v_fma_f64 v[53:54], v[109:110], s[6:7], v[8:9]
	v_fma_f64 v[8:9], v[109:110], s[8:9], v[8:9]
	v_add_f64 v[109:110], v[6:7], v[76:77]
	v_add_f64 v[144:145], v[35:36], v[160:161]
	;; [unrolled: 1-line block ×3, first 2 shown]
	v_fma_f64 v[6:7], v[115:116], -0.5, v[6:7]
	v_add_f64 v[115:116], v[154:155], -v[158:159]
	v_add_f64 v[154:155], v[238:239], v[154:155]
	v_fma_f64 v[156:157], v[49:50], s[8:9], v[24:25]
	v_fma_f64 v[49:50], v[49:50], s[6:7], v[24:25]
	v_add_f64 v[24:25], v[109:110], v[80:81]
	v_add_f64 v[109:110], v[78:79], v[82:83]
	v_fma_f64 v[35:36], v[35:36], -0.5, v[238:239]
	v_add_f64 v[76:77], v[76:77], -v[80:81]
	v_fma_f64 v[80:81], v[115:116], s[6:7], v[6:7]
	v_fma_f64 v[6:7], v[115:116], s[8:9], v[6:7]
	v_add_f64 v[115:116], v[154:155], v[158:159]
	v_add_f64 v[154:155], v[166:167], v[168:169]
	;; [unrolled: 1-line block ×4, first 2 shown]
	v_fma_f64 v[4:5], v[109:110], -0.5, v[4:5]
	v_add_f64 v[109:110], v[166:167], -v[168:169]
	v_fma_f64 v[160:161], v[76:77], s[8:9], v[35:36]
	v_fma_f64 v[182:183], v[76:77], s[6:7], v[35:36]
	v_add_f64 v[35:36], v[148:149], v[166:167]
	v_fma_f64 v[76:77], v[154:155], -0.5, v[148:149]
	v_add_f64 v[78:79], v[78:79], -v[82:83]
	v_add_f64 v[82:83], v[158:159], v[82:83]
	v_add_f64 v[154:155], v[2:3], v[97:98]
	v_fma_f64 v[2:3], v[180:181], -0.5, v[2:3]
	v_add_f64 v[158:159], v[105:106], -v[31:32]
	v_fma_f64 v[148:149], v[109:110], s[6:7], v[4:5]
	v_fma_f64 v[4:5], v[109:110], s[8:9], v[4:5]
	v_add_f64 v[109:110], v[35:36], v[168:169]
	v_fma_f64 v[166:167], v[78:79], s[8:9], v[76:77]
	v_fma_f64 v[168:169], v[78:79], s[6:7], v[76:77]
	v_add_f64 v[78:79], v[99:100], v[103:104]
	v_add_f64 v[35:36], v[105:106], v[31:32]
	;; [unrolled: 1-line block ×3, first 2 shown]
	v_fma_f64 v[154:155], v[158:159], s[6:7], v[2:3]
	v_fma_f64 v[2:3], v[158:159], s[8:9], v[2:3]
	v_add_f64 v[158:159], v[107:108], v[22:23]
	v_add_f64 v[97:98], v[97:98], -v[101:102]
	v_add_f64 v[101:102], v[0:1], v[99:100]
	v_fma_f64 v[0:1], v[78:79], -0.5, v[0:1]
	v_add_f64 v[78:79], v[107:108], -v[22:23]
	v_add_f64 v[107:108], v[240:241], v[107:108]
	v_add_f64 v[105:106], v[152:153], v[105:106]
	v_fma_f64 v[35:36], v[35:36], -0.5, v[152:153]
	v_fma_f64 v[152:153], v[158:159], -0.5, v[240:241]
	v_add_f64 v[99:100], v[99:100], -v[103:104]
	ds_write2_b64 v74, v[33:34], v[162:163] offset1:150
	ds_write_b64 v74, v[117:118] offset:2400
	v_mul_u32_u24_sdwa v218, v133, s18 dst_sel:DWORD dst_unused:UNUSED_PAD src0_sel:WORD_0 src1_sel:DWORD
	v_add_f64 v[184:185], v[107:108], v[22:23]
	v_mov_b32_e32 v22, 0xe10
	v_cndmask_b32_e64 v22, 0, v22, s[0:1]
	v_lshlrev_b32_e32 v23, 3, v26
	v_fma_f64 v[186:187], v[99:100], s[8:9], v[152:153]
	v_fma_f64 v[152:153], v[99:100], s[6:7], v[152:153]
	v_add3_u32 v99, 0, v22, v23
	ds_write2_b64 v99, v[111:112], v[84:85] offset1:150
	ds_write_b64 v99, v[16:17] offset:2400
	v_mul_u32_u24_e32 v16, 0xe10, v18
	v_lshlrev_b32_e32 v17, 3, v27
	v_add3_u32 v84, 0, v16, v17
	ds_write2_b64 v84, v[37:38], v[43:44] offset1:150
	ds_write_b64 v84, v[14:15] offset:2400
	v_mul_u32_u24_e32 v14, 0xe10, v19
	v_lshlrev_b32_e32 v15, 3, v28
	;; [unrolled: 5-line block ×3, first 2 shown]
	v_add3_u32 v43, 0, v12, v13
	v_add_f64 v[158:159], v[105:106], v[31:32]
	v_fma_f64 v[180:181], v[97:98], s[8:9], v[35:36]
	v_fma_f64 v[97:98], v[97:98], s[6:7], v[35:36]
	v_add_f64 v[31:32], v[101:102], v[103:104]
	v_fma_f64 v[35:36], v[78:79], s[6:7], v[0:1]
	ds_write2_b64 v43, v[41:42], v[51:52] offset1:150
	ds_write_b64 v43, v[10:11] offset:2400
	v_mul_u32_u24_e32 v10, 0xe10, v21
	v_lshlrev_b32_e32 v11, 3, v30
	v_fma_f64 v[0:1], v[78:79], s[8:9], v[0:1]
	v_add3_u32 v42, 0, v10, v11
	ds_write2_b64 v42, v[47:48], v[53:54] offset1:150
	ds_write_b64 v42, v[8:9] offset:2400
	v_mul_u32_u24_e32 v8, 0xe10, v55
	v_lshlrev_b32_e32 v9, 3, v67
	v_add3_u32 v48, 0, v8, v9
	ds_write2_b64 v48, v[24:25], v[80:81] offset1:150
	ds_write_b64 v48, v[6:7] offset:2400
	v_mul_u32_u24_e32 v6, 0xe10, v73
	v_lshlrev_b32_e32 v7, 3, v119
	;; [unrolled: 5-line block ×3, first 2 shown]
	v_lshl_add_u32 v53, v244, 3, 0
	v_add3_u32 v52, 0, v4, v5
	v_add_u32_e32 v54, 0x7000, v53
	ds_write2_b64 v52, v[76:77], v[154:155] offset1:150
	ds_write_b64 v52, v[2:3] offset:2400
	ds_write2_b64 v54, v[31:32], v[35:36] offset0:16 offset1:166
	ds_write_b64 v53, v[0:1] offset:31200
	v_add_co_u32_e64 v36, s[0:1], s15, v68
	s_waitcnt lgkmcnt(0)
	s_barrier
	ds_read_b64 v[46:47], v74
	ds_read2_b64 v[76:79], v93 offset0:70 offset1:205
	ds_read2_b64 v[80:83], v94 offset0:12 offset1:147
	ds_read_b64 v[44:45], v86
	ds_read_b64 v[40:41], v87
	ds_read2_b64 v[100:103], v95 offset0:84 offset1:219
	ds_read2_b64 v[104:107], v96 offset0:26 offset1:161
	;; [unrolled: 1-line block ×4, first 2 shown]
	ds_read_b64 v[34:35], v91
	ds_read_b64 v[38:39], v75
	;; [unrolled: 1-line block ×3, first 2 shown]
	ds_read2_b64 v[12:15], v57 offset0:112 offset1:247
	ds_read2_b64 v[8:11], v56 offset0:54 offset1:189
	;; [unrolled: 1-line block ×4, first 2 shown]
	ds_read_b64 v[32:33], v92
	ds_read_b64 v[28:29], v58
	;; [unrolled: 1-line block ×4, first 2 shown]
	s_waitcnt lgkmcnt(0)
	s_barrier
	ds_write2_b64 v74, v[138:139], v[170:171] offset1:150
	ds_write_b64 v74, v[71:72] offset:2400
	ds_write2_b64 v99, v[113:114], v[164:165] offset1:150
	ds_write_b64 v99, v[172:173] offset:2400
	;; [unrolled: 2-line block ×9, first 2 shown]
	ds_write2_b64 v54, v[184:185], v[186:187] offset0:16 offset1:166
	ds_write_b64 v53, v[152:153] offset:31200
	v_addc_co_u32_e64 v37, s[0:1], 0, v69, s[0:1]
	v_add_co_u32_e64 v71, s[0:1], s16, v68
	v_addc_co_u32_e64 v72, s[0:1], 0, v69, s[0:1]
	s_waitcnt lgkmcnt(0)
	s_barrier
	global_load_dwordx4 v[108:111], v[36:37], off offset:2944
	ds_read_b64 v[54:55], v74
	ds_read2_b64 v[112:115], v93 offset0:70 offset1:205
	ds_read2_b64 v[116:119], v94 offset0:12 offset1:147
	ds_read_b64 v[52:53], v86
	ds_read_b64 v[50:51], v87
	ds_read2_b64 v[134:137], v95 offset0:84 offset1:219
	ds_read2_b64 v[138:141], v96 offset0:26 offset1:161
	;; [unrolled: 1-line block ×4, first 2 shown]
	ds_read_b64 v[42:43], v91
	ds_read_b64 v[48:49], v75
	;; [unrolled: 1-line block ×3, first 2 shown]
	ds_read2_b64 v[150:153], v57 offset0:112 offset1:247
	ds_read2_b64 v[154:157], v56 offset0:54 offset1:189
	global_load_dwordx4 v[158:161], v[71:72], off offset:16
	v_lshlrev_b32_e32 v71, 1, v129
	v_mov_b32_e32 v72, v61
	v_lshlrev_b64 v[71:72], 4, v[71:72]
	v_mov_b32_e32 v73, v61
	v_add_co_u32_e64 v97, s[0:1], s12, v71
	v_addc_co_u32_e64 v98, s[0:1], v70, v72, s[0:1]
	v_add_co_u32_e64 v71, s[0:1], s16, v97
	v_addc_co_u32_e64 v72, s[0:1], 0, v98, s[0:1]
	;; [unrolled: 2-line block ×3, first 2 shown]
	global_load_dwordx4 v[162:165], v[162:163], off offset:2944
	s_nop 0
	global_load_dwordx4 v[166:169], v[71:72], off offset:16
	v_lshlrev_b32_e32 v71, 1, v132
	v_mov_b32_e32 v72, v61
	v_lshlrev_b64 v[71:72], 4, v[71:72]
	v_mul_lo_u16_sdwa v218, v218, s17 dst_sel:DWORD dst_unused:UNUSED_PAD src0_sel:BYTE_3 src1_sel:DWORD
	v_add_co_u32_e64 v67, s[0:1], s12, v71
	v_addc_co_u32_e64 v99, s[0:1], v70, v72, s[0:1]
	v_add_co_u32_e64 v71, s[0:1], s16, v67
	v_addc_co_u32_e64 v72, s[0:1], 0, v99, s[0:1]
	;; [unrolled: 2-line block ×3, first 2 shown]
	global_load_dwordx4 v[170:173], v[170:171], off offset:2944
	s_nop 0
	global_load_dwordx4 v[174:177], v[71:72], off offset:16
	v_subrev_u32_e32 v71, 45, v124
	v_cmp_gt_u32_e64 s[0:1], 45, v124
	v_cndmask_b32_e64 v71, v71, v125, s[0:1]
	v_lshlrev_b32_e32 v72, 1, v71
	v_lshlrev_b64 v[72:73], 4, v[72:73]
	v_sub_u16_e32 v248, v133, v218
	v_add_co_u32_e64 v178, s[0:1], s12, v72
	v_addc_co_u32_e64 v179, s[0:1], v70, v73, s[0:1]
	v_add_co_u32_e64 v72, s[0:1], s16, v178
	v_addc_co_u32_e64 v73, s[0:1], 0, v179, s[0:1]
	;; [unrolled: 2-line block ×3, first 2 shown]
	global_load_dwordx4 v[178:181], v[178:179], off offset:2944
	s_nop 0
	global_load_dwordx4 v[182:185], v[72:73], off offset:16
	v_add_u32_e32 v72, 0xb4, v60
	v_mov_b32_e32 v73, v61
	v_lshlrev_b64 v[72:73], 4, v[72:73]
	v_add_u32_e32 v60, 0x1c2, v60
	v_add_co_u32_e64 v186, s[0:1], s12, v72
	v_addc_co_u32_e64 v187, s[0:1], v70, v73, s[0:1]
	v_add_co_u32_e64 v72, s[0:1], s16, v186
	v_addc_co_u32_e64 v73, s[0:1], 0, v187, s[0:1]
	;; [unrolled: 2-line block ×3, first 2 shown]
	global_load_dwordx4 v[186:189], v[186:187], off offset:2944
	s_nop 0
	global_load_dwordx4 v[190:193], v[72:73], off offset:16
	v_lshlrev_b64 v[72:73], 4, v[60:61]
	v_lshlrev_b32_e32 v218, 5, v248
	v_add_co_u32_e64 v60, s[0:1], s12, v72
	v_addc_co_u32_e64 v195, s[0:1], v70, v73, s[0:1]
	v_add_co_u32_e64 v72, s[0:1], s16, v60
	v_addc_co_u32_e64 v73, s[0:1], 0, v195, s[0:1]
	;; [unrolled: 2-line block ×3, first 2 shown]
	v_mul_u32_u24_sdwa v60, v126, s18 dst_sel:DWORD dst_unused:UNUSED_PAD src0_sel:WORD_0 src1_sel:DWORD
	global_load_dwordx4 v[194:197], v[194:195], off offset:2944
	s_nop 0
	global_load_dwordx4 v[198:201], v[72:73], off offset:16
	v_mul_lo_u16_sdwa v72, v60, s17 dst_sel:DWORD dst_unused:UNUSED_PAD src0_sel:BYTE_3 src1_sel:DWORD
	v_sub_u16_e32 v72, v126, v72
	v_lshlrev_b32_e32 v73, 5, v72
	v_add_co_u32_e64 v73, s[0:1], s12, v73
	v_addc_co_u32_e64 v203, s[0:1], 0, v70, s[0:1]
	v_add_co_u32_e64 v206, s[0:1], s16, v73
	v_addc_co_u32_e64 v207, s[0:1], 0, v203, s[0:1]
	v_add_co_u32_e64 v202, s[0:1], s15, v73
	v_mul_u32_u24_sdwa v73, v130, s18 dst_sel:DWORD dst_unused:UNUSED_PAD src0_sel:WORD_0 src1_sel:DWORD
	v_addc_co_u32_e64 v203, s[0:1], 0, v203, s[0:1]
	v_mul_lo_u16_sdwa v73, v73, s17 dst_sel:DWORD dst_unused:UNUSED_PAD src0_sel:BYTE_3 src1_sel:DWORD
	global_load_dwordx4 v[202:205], v[202:203], off offset:2944
	s_nop 0
	global_load_dwordx4 v[206:209], v[206:207], off offset:16
	v_sub_u16_e32 v73, v130, v73
	v_lshlrev_b32_e32 v210, 5, v73
	v_add_co_u32_e64 v210, s[0:1], s12, v210
	v_addc_co_u32_e64 v211, s[0:1], 0, v70, s[0:1]
	v_add_co_u32_e64 v214, s[0:1], s16, v210
	v_addc_co_u32_e64 v215, s[0:1], 0, v211, s[0:1]
	;; [unrolled: 2-line block ×3, first 2 shown]
	global_load_dwordx4 v[210:213], v[210:211], off offset:2944
	s_nop 0
	global_load_dwordx4 v[214:217], v[214:215], off offset:16
	v_add_co_u32_e64 v218, s[0:1], s12, v218
	v_addc_co_u32_e64 v219, s[0:1], 0, v70, s[0:1]
	v_add_co_u32_e64 v222, s[0:1], s16, v218
	v_addc_co_u32_e64 v223, s[0:1], 0, v219, s[0:1]
	;; [unrolled: 2-line block ×3, first 2 shown]
	global_load_dwordx4 v[218:221], v[218:219], off offset:2944
	s_nop 0
	global_load_dwordx4 v[222:225], v[222:223], off offset:16
	v_mul_u32_u24_sdwa v226, v128, s18 dst_sel:DWORD dst_unused:UNUSED_PAD src0_sel:WORD_0 src1_sel:DWORD
	v_mul_lo_u16_sdwa v226, v226, s17 dst_sel:DWORD dst_unused:UNUSED_PAD src0_sel:BYTE_3 src1_sel:DWORD
	v_sub_u16_e32 v249, v128, v226
	v_lshlrev_b32_e32 v226, 5, v249
	v_add_co_u32_e64 v230, s[0:1], s12, v226
	v_addc_co_u32_e64 v70, s[0:1], 0, v70, s[0:1]
	v_add_co_u32_e64 v226, s[0:1], s15, v230
	v_addc_co_u32_e64 v227, s[0:1], 0, v70, s[0:1]
	global_load_dwordx4 v[226:229], v[226:227], off offset:2944
	v_add_co_u32_e64 v230, s[0:1], s16, v230
	v_addc_co_u32_e64 v231, s[0:1], 0, v70, s[0:1]
	global_load_dwordx4 v[230:233], v[230:231], off offset:16
	s_waitcnt vmcnt(19) lgkmcnt(12)
	v_mul_f64 v[84:85], v[112:113], v[110:111]
	v_mul_f64 v[110:111], v[76:77], v[110:111]
	s_waitcnt vmcnt(17)
	v_mul_f64 v[242:243], v[114:115], v[164:165]
	s_waitcnt vmcnt(16) lgkmcnt(11)
	v_mul_f64 v[246:247], v[118:119], v[168:169]
	ds_read2_b64 v[234:237], v62 offset0:62 offset1:197
	ds_read2_b64 v[238:241], v63 offset0:68 offset1:203
	v_cmp_lt_u32_e64 s[0:1], 44, v124
	s_movk_i32 s15, 0x2a30
	v_fma_f64 v[76:77], v[76:77], v[108:109], v[84:85]
	v_fma_f64 v[84:85], v[112:113], v[108:109], -v[110:111]
	v_mul_f64 v[108:109], v[116:117], v[160:161]
	v_mul_f64 v[110:111], v[78:79], v[164:165]
	v_mul_f64 v[112:113], v[80:81], v[160:161]
	v_fma_f64 v[78:79], v[78:79], v[162:163], v[242:243]
	ds_read_b64 v[160:161], v92
	ds_read_b64 v[164:165], v58
	;; [unrolled: 1-line block ×4, first 2 shown]
	s_waitcnt vmcnt(0) lgkmcnt(0)
	s_barrier
	v_fma_f64 v[80:81], v[80:81], v[158:159], v[108:109]
	v_fma_f64 v[110:111], v[114:115], v[162:163], -v[110:111]
	v_mul_f64 v[114:115], v[82:83], v[168:169]
	v_mul_f64 v[108:109], v[100:101], v[172:173]
	v_fma_f64 v[112:113], v[116:117], v[158:159], -v[112:113]
	v_mul_f64 v[158:159], v[104:105], v[176:177]
	v_mul_f64 v[162:163], v[134:135], v[172:173]
	;; [unrolled: 1-line block ×3, first 2 shown]
	v_fma_f64 v[82:83], v[82:83], v[166:167], v[246:247]
	v_fma_f64 v[114:115], v[118:119], v[166:167], -v[114:115]
	v_mul_f64 v[118:119], v[136:137], v[180:181]
	v_fma_f64 v[108:109], v[134:135], v[170:171], -v[108:109]
	v_mul_f64 v[134:135], v[102:103], v[180:181]
	;; [unrolled: 2-line block ×3, first 2 shown]
	v_fma_f64 v[104:105], v[104:105], v[174:175], v[116:117]
	v_mul_f64 v[116:117], v[140:141], v[184:185]
	v_fma_f64 v[100:101], v[100:101], v[170:171], v[162:163]
	v_fma_f64 v[102:103], v[102:103], v[178:179], v[118:119]
	v_mul_f64 v[118:119], v[20:21], v[188:189]
	v_fma_f64 v[134:135], v[136:137], v[178:179], -v[134:135]
	v_mul_f64 v[136:137], v[146:147], v[192:193]
	v_fma_f64 v[140:141], v[140:141], v[182:183], -v[158:159]
	v_mul_f64 v[158:159], v[144:145], v[196:197]
	v_mul_f64 v[162:163], v[142:143], v[188:189]
	v_fma_f64 v[106:107], v[106:107], v[182:183], v[116:117]
	v_mul_f64 v[116:117], v[16:17], v[192:193]
	v_fma_f64 v[118:119], v[142:143], v[186:187], -v[118:119]
	v_mul_f64 v[142:143], v[22:23], v[196:197]
	v_fma_f64 v[16:17], v[16:17], v[190:191], v[136:137]
	v_mul_f64 v[136:137], v[148:149], v[200:201]
	v_fma_f64 v[22:23], v[22:23], v[194:195], v[158:159]
	v_mul_f64 v[158:159], v[12:13], v[204:205]
	v_fma_f64 v[20:21], v[20:21], v[186:187], v[162:163]
	v_fma_f64 v[116:117], v[146:147], v[190:191], -v[116:117]
	v_mul_f64 v[146:147], v[18:19], v[200:201]
	v_mul_f64 v[162:163], v[150:151], v[204:205]
	v_fma_f64 v[142:143], v[144:145], v[194:195], -v[142:143]
	v_mul_f64 v[144:145], v[154:155], v[208:209]
	v_fma_f64 v[18:19], v[18:19], v[198:199], v[136:137]
	v_mul_f64 v[136:137], v[8:9], v[208:209]
	v_fma_f64 v[150:151], v[150:151], v[202:203], -v[158:159]
	v_mul_f64 v[158:159], v[14:15], v[212:213]
	v_fma_f64 v[146:147], v[148:149], v[198:199], -v[146:147]
	v_mul_f64 v[148:149], v[152:153], v[212:213]
	v_fma_f64 v[12:13], v[12:13], v[202:203], v[162:163]
	v_fma_f64 v[8:9], v[8:9], v[206:207], v[144:145]
	v_mul_f64 v[144:145], v[156:157], v[216:217]
	v_fma_f64 v[136:137], v[154:155], v[206:207], -v[136:137]
	v_mul_f64 v[154:155], v[10:11], v[216:217]
	v_fma_f64 v[152:153], v[152:153], v[210:211], -v[158:159]
	v_mul_f64 v[158:159], v[238:239], v[224:225]
	v_mul_f64 v[162:163], v[234:235], v[220:221]
	v_add_f64 v[170:171], v[84:85], v[112:113]
	v_fma_f64 v[14:15], v[14:15], v[210:211], v[148:149]
	v_fma_f64 v[10:11], v[10:11], v[214:215], v[144:145]
	v_mul_f64 v[144:145], v[0:1], v[224:225]
	v_fma_f64 v[154:155], v[156:157], v[214:215], -v[154:155]
	v_mul_f64 v[156:157], v[236:237], v[228:229]
	v_fma_f64 v[0:1], v[0:1], v[222:223], v[158:159]
	v_add_f64 v[158:159], v[76:77], v[80:81]
	v_mul_f64 v[148:149], v[4:5], v[220:221]
	v_fma_f64 v[4:5], v[4:5], v[218:219], v[162:163]
	v_mul_f64 v[162:163], v[6:7], v[228:229]
	v_mul_f64 v[166:167], v[240:241], v[232:233]
	;; [unrolled: 1-line block ×3, first 2 shown]
	v_fma_f64 v[6:7], v[6:7], v[226:227], v[156:157]
	v_add_f64 v[156:157], v[46:47], v[76:77]
	v_fma_f64 v[46:47], v[158:159], -0.5, v[46:47]
	v_add_f64 v[158:159], v[84:85], -v[112:113]
	v_add_f64 v[84:85], v[54:55], v[84:85]
	v_fma_f64 v[54:55], v[170:171], -0.5, v[54:55]
	v_add_f64 v[76:77], v[76:77], -v[80:81]
	v_fma_f64 v[2:3], v[2:3], v[230:231], v[166:167]
	v_fma_f64 v[166:167], v[240:241], v[230:231], -v[168:169]
	v_add_f64 v[168:169], v[78:79], v[82:83]
	v_add_f64 v[156:157], v[156:157], v[80:81]
	v_fma_f64 v[80:81], v[158:159], s[6:7], v[46:47]
	v_add_f64 v[112:113], v[84:85], v[112:113]
	v_add_f64 v[84:85], v[110:111], v[114:115]
	v_fma_f64 v[170:171], v[76:77], s[8:9], v[54:55]
	v_fma_f64 v[172:173], v[76:77], s[6:7], v[54:55]
	v_add_f64 v[54:55], v[52:53], v[110:111]
	v_fma_f64 v[46:47], v[158:159], s[8:9], v[46:47]
	v_add_f64 v[158:159], v[44:45], v[78:79]
	v_fma_f64 v[44:45], v[168:169], -0.5, v[44:45]
	v_add_f64 v[168:169], v[110:111], -v[114:115]
	v_add_f64 v[110:111], v[100:101], v[104:105]
	v_fma_f64 v[52:53], v[84:85], -0.5, v[52:53]
	v_add_f64 v[78:79], v[78:79], -v[82:83]
	v_add_f64 v[84:85], v[40:41], v[100:101]
	v_add_f64 v[114:115], v[54:55], v[114:115]
	;; [unrolled: 1-line block ×4, first 2 shown]
	v_fma_f64 v[82:83], v[168:169], s[6:7], v[44:45]
	v_fma_f64 v[44:45], v[168:169], s[8:9], v[44:45]
	v_fma_f64 v[40:41], v[110:111], -0.5, v[40:41]
	v_add_f64 v[110:111], v[108:109], -v[138:139]
	v_fma_f64 v[158:159], v[78:79], s[8:9], v[52:53]
	v_fma_f64 v[168:169], v[78:79], s[6:7], v[52:53]
	v_add_f64 v[52:53], v[50:51], v[108:109]
	v_add_f64 v[78:79], v[84:85], v[104:105]
	v_add_f64 v[84:85], v[102:103], v[106:107]
	v_fma_f64 v[50:51], v[54:55], -0.5, v[50:51]
	v_add_f64 v[54:55], v[100:101], -v[104:105]
	v_fma_f64 v[100:101], v[110:111], s[6:7], v[40:41]
	v_fma_f64 v[40:41], v[110:111], s[8:9], v[40:41]
	v_add_f64 v[104:105], v[38:39], v[102:103]
	v_add_f64 v[108:109], v[52:53], v[138:139]
	v_add_f64 v[52:53], v[134:135], v[140:141]
	;; [unrolled: 7-line block ×8, first 2 shown]
	v_fma_f64 v[30:31], v[118:119], -0.5, v[30:31]
	v_add_f64 v[118:119], v[150:151], -v[136:137]
	v_add_f64 v[150:151], v[36:37], v[150:151]
	v_fma_f64 v[146:147], v[18:19], s[8:9], v[48:49]
	v_fma_f64 v[18:19], v[18:19], s[6:7], v[48:49]
	v_add_f64 v[48:49], v[84:85], v[8:9]
	v_add_f64 v[8:9], v[12:13], -v[8:9]
	v_fma_f64 v[36:37], v[42:43], -0.5, v[36:37]
	v_fma_f64 v[148:149], v[234:235], v[218:219], -v[148:149]
	v_fma_f64 v[144:145], v[238:239], v[222:223], -v[144:145]
	v_add_f64 v[84:85], v[14:15], v[10:11]
	v_fma_f64 v[12:13], v[118:119], s[6:7], v[30:31]
	v_fma_f64 v[30:31], v[118:119], s[8:9], v[30:31]
	v_add_f64 v[118:119], v[150:151], v[136:137]
	v_add_f64 v[42:43], v[152:153], v[154:155]
	v_add_f64 v[136:137], v[28:29], v[14:15]
	v_add_f64 v[160:161], v[4:5], v[0:1]
	v_fma_f64 v[150:151], v[8:9], s[8:9], v[36:37]
	v_fma_f64 v[174:175], v[8:9], s[6:7], v[36:37]
	v_add_f64 v[8:9], v[164:165], v[152:153]
	v_fma_f64 v[162:163], v[236:237], v[226:227], -v[162:163]
	v_fma_f64 v[28:29], v[84:85], -0.5, v[28:29]
	v_add_f64 v[84:85], v[152:153], -v[154:155]
	v_fma_f64 v[36:37], v[42:43], -0.5, v[164:165]
	v_add_f64 v[14:15], v[14:15], -v[10:11]
	v_add_f64 v[10:11], v[136:137], v[10:11]
	v_add_f64 v[136:137], v[26:27], v[4:5]
	v_fma_f64 v[26:27], v[160:161], -0.5, v[26:27]
	v_add_f64 v[152:153], v[148:149], -v[144:145]
	v_add_f64 v[154:155], v[8:9], v[154:155]
	v_add_f64 v[8:9], v[148:149], v[144:145]
	v_fma_f64 v[42:43], v[84:85], s[6:7], v[28:29]
	v_fma_f64 v[28:29], v[84:85], s[8:9], v[28:29]
	;; [unrolled: 1-line block ×4, first 2 shown]
	v_add_f64 v[36:37], v[136:137], v[0:1]
	v_add_f64 v[84:85], v[6:7], v[2:3]
	v_fma_f64 v[136:137], v[152:153], s[6:7], v[26:27]
	v_fma_f64 v[26:27], v[152:153], s[8:9], v[26:27]
	v_add_f64 v[152:153], v[162:163], v[166:167]
	v_add_f64 v[148:149], v[242:243], v[148:149]
	v_fma_f64 v[8:9], v[8:9], -0.5, v[242:243]
	v_add_f64 v[0:1], v[4:5], -v[0:1]
	v_add_f64 v[4:5], v[24:25], v[6:7]
	v_fma_f64 v[24:25], v[84:85], -0.5, v[24:25]
	v_add_f64 v[84:85], v[162:163], -v[166:167]
	;; [unrolled: 3-line block ×3, first 2 shown]
	v_add_f64 v[144:145], v[148:149], v[144:145]
	v_fma_f64 v[148:149], v[0:1], s[8:9], v[8:9]
	v_fma_f64 v[164:165], v[0:1], s[6:7], v[8:9]
	v_add_f64 v[0:1], v[4:5], v[2:3]
	v_fma_f64 v[2:3], v[84:85], s[6:7], v[24:25]
	v_add_f64 v[162:163], v[162:163], v[166:167]
	v_fma_f64 v[4:5], v[84:85], s[8:9], v[24:25]
	v_fma_f64 v[166:167], v[6:7], s[8:9], v[152:153]
	;; [unrolled: 1-line block ×3, first 2 shown]
	v_mov_b32_e32 v6, 0x2a30
	v_cndmask_b32_e64 v6, 0, v6, s[0:1]
	v_lshlrev_b32_e32 v7, 3, v71
	ds_write_b64 v74, v[156:157]
	ds_write_b64 v74, v[80:81] offset:3600
	ds_write_b64 v74, v[46:47] offset:7200
	ds_write_b64 v86, v[76:77]
	ds_write_b64 v86, v[82:83] offset:3600
	ds_write_b64 v86, v[44:45] offset:7200
	;; [unrolled: 3-line block ×3, first 2 shown]
	v_add3_u32 v100, 0, v6, v7
	v_lshl_add_u32 v6, v124, 3, 0
	ds_write_b64 v100, v[54:55]
	ds_write_b64 v100, v[102:103] offset:3600
	ds_write_b64 v100, v[38:39] offset:7200
	v_add_u32_e32 v101, 0x2c00, v6
	v_add_u32_e32 v102, 0x3800, v6
	;; [unrolled: 1-line block ×3, first 2 shown]
	v_mul_u32_u24_sdwa v6, v60, s15 dst_sel:DWORD dst_unused:UNUSED_PAD src0_sel:BYTE_3 src1_sel:DWORD
	v_lshlrev_b32_e32 v7, 3, v72
	v_add3_u32 v60, 0, v6, v7
	ds_write2_b64 v101, v[52:53], v[50:51] offset0:32 offset1:167
	ds_write2_b64 v102, v[20:21], v[22:23] offset0:98 offset1:233
	;; [unrolled: 1-line block ×3, first 2 shown]
	ds_write_b64 v60, v[48:49]
	ds_write_b64 v60, v[12:13] offset:3600
	ds_write_b64 v60, v[30:31] offset:7200
	v_lshl_add_u32 v12, v73, 3, 0
	ds_write_b64 v12, v[10:11] offset:21600
	ds_write_b64 v12, v[42:43] offset:25200
	;; [unrolled: 1-line block ×3, first 2 shown]
	v_lshl_add_u32 v10, v248, 3, 0
	v_lshl_add_u32 v11, v249, 3, 0
	ds_write_b64 v10, v[36:37] offset:21600
	ds_write_b64 v10, v[136:137] offset:25200
	ds_write_b64 v10, v[26:27] offset:28800
	ds_write_b64 v11, v[0:1] offset:21600
	ds_write_b64 v11, v[2:3] offset:25200
	ds_write_b64 v11, v[4:5] offset:28800
	s_waitcnt lgkmcnt(0)
	s_barrier
	ds_read_b64 v[76:77], v74
	ds_read2_b64 v[24:27], v93 offset0:70 offset1:205
	ds_read2_b64 v[28:31], v94 offset0:12 offset1:147
	ds_read_b64 v[78:79], v86
	ds_read_b64 v[80:81], v87
	ds_read2_b64 v[32:35], v95 offset0:84 offset1:219
	ds_read2_b64 v[36:39], v96 offset0:26 offset1:161
	;; [unrolled: 1-line block ×4, first 2 shown]
	ds_read_b64 v[84:85], v91
	ds_read_b64 v[82:83], v75
	;; [unrolled: 1-line block ×3, first 2 shown]
	ds_read2_b64 v[20:23], v57 offset0:112 offset1:247
	ds_read2_b64 v[48:51], v56 offset0:54 offset1:189
	;; [unrolled: 1-line block ×4, first 2 shown]
	ds_read_b64 v[70:71], v92
	ds_read_b64 v[52:53], v58
	;; [unrolled: 1-line block ×4, first 2 shown]
	s_waitcnt lgkmcnt(0)
	s_barrier
	ds_write_b64 v74, v[112:113]
	ds_write_b64 v74, v[170:171] offset:3600
	ds_write_b64 v74, v[172:173] offset:7200
	ds_write_b64 v86, v[114:115]
	ds_write_b64 v86, v[158:159] offset:3600
	ds_write_b64 v86, v[168:169] offset:7200
	;; [unrolled: 3-line block ×4, first 2 shown]
	ds_write2_b64 v101, v[104:105], v[142:143] offset0:32 offset1:167
	ds_write2_b64 v102, v[116:117], v[146:147] offset0:98 offset1:233
	;; [unrolled: 1-line block ×3, first 2 shown]
	ds_write_b64 v60, v[118:119]
	ds_write_b64 v60, v[150:151] offset:3600
	ds_write_b64 v60, v[174:175] offset:7200
	;; [unrolled: 1-line block ×11, first 2 shown]
	s_waitcnt lgkmcnt(0)
	s_barrier
	s_and_saveexec_b64 s[0:1], vcc
	s_cbranch_execz .LBB0_15
; %bb.14:
	v_lshlrev_b32_e32 v60, 1, v128
	v_lshlrev_b64 v[10:11], 4, v[60:61]
	v_mov_b32_e32 v100, s13
	v_add_co_u32_e32 v10, vcc, s12, v10
	v_addc_co_u32_e32 v11, vcc, v100, v11, vcc
	s_movk_i32 s0, 0x53c0
	v_add_co_u32_e32 v18, vcc, s0, v10
	v_addc_co_u32_e32 v19, vcc, 0, v11, vcc
	v_add_co_u32_e32 v86, vcc, s14, v10
	v_addc_co_u32_e32 v87, vcc, 0, v11, vcc
	global_load_dwordx4 v[10:13], v[86:87], off offset:960
	global_load_dwordx4 v[14:17], v[18:19], off offset:16
	v_lshlrev_b32_e32 v60, 1, v133
	v_lshlrev_b64 v[18:19], 4, v[60:61]
	v_mul_lo_u32 v119, s5, v122
	v_add_co_u32_e32 v60, vcc, s12, v18
	v_addc_co_u32_e32 v87, vcc, v100, v19, vcc
	v_add_co_u32_e32 v18, vcc, s0, v60
	v_addc_co_u32_e32 v19, vcc, 0, v87, vcc
	;; [unrolled: 2-line block ×3, first 2 shown]
	global_load_dwordx4 v[103:106], v[86:87], off offset:960
	global_load_dwordx4 v[107:110], v[18:19], off offset:16
	v_lshlrev_b32_e32 v60, 1, v130
	v_lshlrev_b64 v[18:19], 4, v[60:61]
	v_mul_lo_u32 v128, s4, v123
	v_add_co_u32_e32 v60, vcc, s12, v18
	v_addc_co_u32_e32 v87, vcc, v100, v19, vcc
	v_add_co_u32_e32 v18, vcc, s0, v60
	v_addc_co_u32_e32 v19, vcc, 0, v87, vcc
	v_add_co_u32_e32 v86, vcc, s14, v60
	v_addc_co_u32_e32 v87, vcc, 0, v87, vcc
	global_load_dwordx4 v[111:114], v[86:87], off offset:960
	global_load_dwordx4 v[115:118], v[18:19], off offset:16
	v_mad_u64_u32 v[86:87], s[4:5], s4, v122, 0
	v_lshlrev_b32_e32 v60, 1, v126
	v_mul_i32_i24_e32 v101, 0xffffffb8, v129
	v_add3_u32 v87, v87, v128, v119
	v_lshlrev_b64 v[128:129], 4, v[60:61]
	v_mul_i32_i24_e32 v102, 0xffffffb8, v132
	v_add_co_u32_e32 v60, vcc, s12, v128
	ds_read2_b64 v[132:135], v62 offset0:62 offset1:197
	ds_read2_b64 v[136:139], v63 offset0:68 offset1:203
	ds_read_b64 v[18:19], v66
	ds_read_b64 v[62:63], v59
	;; [unrolled: 1-line block ×3, first 2 shown]
	ds_read2_b64 v[140:143], v57 offset0:112 offset1:247
	ds_read2_b64 v[56:59], v56 offset0:54 offset1:189
	v_addc_co_u32_e32 v66, vcc, v100, v129, vcc
	v_add_co_u32_e32 v128, vcc, s0, v60
	v_addc_co_u32_e32 v129, vcc, 0, v66, vcc
	v_add_co_u32_e32 v144, vcc, s14, v60
	v_addc_co_u32_e32 v145, vcc, 0, v66, vcc
	global_load_dwordx4 v[144:147], v[144:145], off offset:960
	s_nop 0
	global_load_dwordx4 v[148:151], v[128:129], off offset:16
	v_lshlrev_b32_e32 v60, 1, v131
	v_add_u32_e32 v88, v88, v101
	s_movk_i32 s1, 0xfd2
	s_waitcnt vmcnt(7)
	v_mul_f64 v[128:129], v[6:7], v[12:13]
	s_waitcnt vmcnt(6)
	v_mul_f64 v[152:153], v[2:3], v[16:17]
	s_waitcnt lgkmcnt(6)
	v_mul_f64 v[12:13], v[134:135], v[12:13]
	s_waitcnt lgkmcnt(5)
	v_mul_f64 v[16:17], v[138:139], v[16:17]
	v_fma_f64 v[128:129], v[10:11], v[134:135], -v[128:129]
	v_fma_f64 v[134:135], v[14:15], v[138:139], -v[152:153]
	v_fma_f64 v[6:7], v[6:7], v[10:11], v[12:13]
	v_fma_f64 v[2:3], v[2:3], v[14:15], v[16:17]
	s_waitcnt vmcnt(5)
	v_mul_f64 v[154:155], v[4:5], v[105:106]
	s_waitcnt vmcnt(4)
	v_mul_f64 v[156:157], v[0:1], v[109:110]
	v_mul_f64 v[105:106], v[132:133], v[105:106]
	v_add_f64 v[10:11], v[128:129], v[134:135]
	v_mul_f64 v[109:110], v[136:137], v[109:110]
	s_waitcnt lgkmcnt(4)
	v_add_f64 v[14:15], v[18:19], v[128:129]
	v_fma_f64 v[12:13], v[103:104], v[132:133], -v[154:155]
	v_fma_f64 v[16:17], v[107:108], v[136:137], -v[156:157]
	v_fma_f64 v[152:153], v[4:5], v[103:104], v[105:106]
	v_add_f64 v[4:5], v[6:7], v[2:3]
	v_add_f64 v[103:104], v[8:9], v[6:7]
	v_add_f64 v[6:7], v[6:7], -v[2:3]
	v_fma_f64 v[18:19], v[10:11], -0.5, v[18:19]
	v_fma_f64 v[154:155], v[0:1], v[107:108], v[109:110]
	v_add_f64 v[105:106], v[128:129], -v[134:135]
	v_add_f64 v[0:1], v[12:13], v[16:17]
	s_waitcnt vmcnt(3)
	v_mul_f64 v[136:137], v[22:23], v[113:114]
	v_fma_f64 v[4:5], v[4:5], -0.5, v[8:9]
	v_add_f64 v[8:9], v[103:104], v[2:3]
	s_waitcnt vmcnt(2)
	v_mul_f64 v[138:139], v[50:51], v[117:118]
	v_fma_f64 v[2:3], v[6:7], s[6:7], v[18:19]
	v_fma_f64 v[6:7], v[6:7], s[8:9], v[18:19]
	v_lshlrev_b64 v[18:19], 4, v[60:61]
	s_waitcnt lgkmcnt(3)
	v_fma_f64 v[158:159], v[0:1], -0.5, v[62:63]
	v_add_co_u32_e32 v60, vcc, s12, v18
	v_addc_co_u32_e32 v66, vcc, v100, v19, vcc
	v_add_co_u32_e32 v18, vcc, s0, v60
	v_addc_co_u32_e32 v19, vcc, 0, v66, vcc
	;; [unrolled: 2-line block ×3, first 2 shown]
	v_fma_f64 v[0:1], v[105:106], s[8:9], v[4:5]
	v_fma_f64 v[4:5], v[105:106], s[6:7], v[4:5]
	global_load_dwordx4 v[103:106], v[103:104], off offset:960
	s_nop 0
	global_load_dwordx4 v[107:110], v[18:19], off offset:16
	v_lshlrev_b32_e32 v60, 1, v127
	v_lshlrev_b64 v[18:19], 4, v[60:61]
	s_waitcnt lgkmcnt(1)
	v_mul_f64 v[113:114], v[142:143], v[113:114]
	v_add_co_u32_e32 v60, vcc, s12, v18
	v_addc_co_u32_e32 v66, vcc, v100, v19, vcc
	v_add_co_u32_e32 v18, vcc, s0, v60
	v_addc_co_u32_e32 v19, vcc, 0, v66, vcc
	;; [unrolled: 2-line block ×3, first 2 shown]
	global_load_dwordx4 v[126:129], v[126:127], off offset:960
	s_nop 0
	global_load_dwordx4 v[130:133], v[18:19], off offset:16
	v_add_f64 v[156:157], v[152:153], -v[154:155]
	v_add_f64 v[160:161], v[152:153], v[154:155]
	s_waitcnt lgkmcnt(0)
	v_mul_f64 v[117:118], v[58:59], v[117:118]
	v_add_f64 v[10:11], v[14:15], v[134:135]
	v_add_f64 v[62:63], v[62:63], v[12:13]
	v_fma_f64 v[136:137], v[111:112], v[142:143], -v[136:137]
	v_fma_f64 v[58:59], v[115:116], v[58:59], -v[138:139]
	v_fma_f64 v[111:112], v[22:23], v[111:112], v[113:114]
	v_fma_f64 v[14:15], v[156:157], s[6:7], v[158:159]
	;; [unrolled: 1-line block ×3, first 2 shown]
	v_fma_f64 v[134:135], v[160:161], -0.5, v[54:55]
	v_add_f64 v[156:157], v[12:13], -v[16:17]
	v_fma_f64 v[113:114], v[50:51], v[115:116], v[117:118]
	s_waitcnt vmcnt(4)
	v_mul_f64 v[115:116], v[48:49], v[150:151]
	v_mul_f64 v[50:51], v[20:21], v[146:147]
	v_add_f64 v[22:23], v[62:63], v[16:17]
	v_add_f64 v[62:63], v[136:137], v[58:59]
	;; [unrolled: 1-line block ×3, first 2 shown]
	v_lshlrev_b32_e32 v60, 1, v125
	v_fma_f64 v[12:13], v[156:157], s[8:9], v[134:135]
	v_fma_f64 v[16:17], v[156:157], s[6:7], v[134:135]
	v_add_f64 v[117:118], v[111:112], v[113:114]
	v_fma_f64 v[156:157], v[148:149], v[56:57], -v[115:116]
	v_mul_f64 v[56:57], v[56:57], v[150:151]
	v_fma_f64 v[152:153], v[144:145], v[140:141], -v[50:51]
	v_add_f64 v[115:116], v[111:112], -v[113:114]
	v_add_f64 v[111:112], v[52:53], v[111:112]
	v_mul_f64 v[50:51], v[140:141], v[146:147]
	v_fma_f64 v[62:63], v[62:63], -0.5, v[122:123]
	v_fma_f64 v[117:118], v[117:118], -0.5, v[52:53]
	v_lshlrev_b64 v[60:61], 4, v[60:61]
	v_fma_f64 v[160:161], v[48:49], v[148:149], v[56:57]
	v_add_f64 v[56:57], v[136:137], -v[58:59]
	v_add_co_u32_e32 v66, vcc, s12, v60
	ds_read_b64 v[150:151], v92
	v_add_f64 v[122:123], v[122:123], v[136:137]
	ds_read_b64 v[136:137], v90
	v_addc_co_u32_e32 v92, vcc, v100, v61, vcc
	v_add_f64 v[134:135], v[152:153], v[156:157]
	v_add_co_u32_e32 v60, vcc, s0, v66
	v_addc_co_u32_e32 v61, vcc, 0, v92, vcc
	v_fma_f64 v[48:49], v[56:57], s[8:9], v[117:118]
	v_fma_f64 v[52:53], v[56:57], s[6:7], v[117:118]
	v_add_f64 v[56:57], v[111:112], v[113:114]
	v_add_co_u32_e32 v111, vcc, s14, v66
	v_addc_co_u32_e32 v112, vcc, 0, v92, vcc
	v_fma_f64 v[158:159], v[20:21], v[144:145], v[50:51]
	ds_read_b64 v[90:91], v91
	ds_read_b64 v[162:163], v75
	;; [unrolled: 1-line block ×3, first 2 shown]
	v_add_f64 v[20:21], v[54:55], v[154:155]
	v_fma_f64 v[50:51], v[115:116], s[6:7], v[62:63]
	v_fma_f64 v[54:55], v[115:116], s[8:9], v[62:63]
	global_load_dwordx4 v[111:114], v[111:112], off offset:960
	s_nop 0
	global_load_dwordx4 v[115:118], v[60:61], off offset:16
	s_waitcnt lgkmcnt(3)
	v_fma_f64 v[74:75], v[134:135], -0.5, v[136:137]
	v_add_f64 v[58:59], v[122:123], v[58:59]
	v_add_f64 v[122:123], v[136:137], v[152:153]
	ds_read2_b64 v[134:137], v64 offset0:98 offset1:233
	ds_read2_b64 v[138:141], v65 offset0:40 offset1:175
	v_add_co_u32_e32 v64, vcc, s0, v67
	v_addc_co_u32_e32 v65, vcc, 0, v99, vcc
	v_add_co_u32_e32 v66, vcc, s14, v67
	v_addc_co_u32_e32 v67, vcc, 0, v99, vcc
	global_load_dwordx4 v[142:145], v[66:67], off offset:960
	global_load_dwordx4 v[146:149], v[64:65], off offset:16
	s_waitcnt vmcnt(7)
	v_mul_f64 v[64:65], v[46:47], v[105:106]
	s_waitcnt lgkmcnt(1)
	v_mul_f64 v[99:100], v[136:137], v[105:106]
	s_waitcnt vmcnt(6)
	v_mul_f64 v[66:67], v[42:43], v[109:110]
	s_waitcnt lgkmcnt(0)
	v_mul_f64 v[105:106], v[140:141], v[109:110]
	v_add_f64 v[152:153], v[152:153], -v[156:157]
	v_add_f64 v[166:167], v[158:159], -v[160:161]
	v_add_f64 v[60:61], v[158:159], v[160:161]
	s_waitcnt vmcnt(5)
	v_mul_f64 v[109:110], v[44:45], v[128:129]
	v_fma_f64 v[136:137], v[103:104], v[136:137], -v[64:65]
	v_fma_f64 v[46:47], v[46:47], v[103:104], v[99:100]
	v_add_co_u32_e32 v103, vcc, s0, v97
	v_fma_f64 v[140:141], v[107:108], v[140:141], -v[66:67]
	v_fma_f64 v[170:171], v[42:43], v[107:108], v[105:106]
	v_mul_f64 v[107:108], v[134:135], v[128:129]
	v_addc_co_u32_e32 v104, vcc, 0, v98, vcc
	v_add_co_u32_e32 v97, vcc, s14, v97
	v_addc_co_u32_e32 v98, vcc, 0, v98, vcc
	global_load_dwordx4 v[97:100], v[97:98], off offset:960
	s_nop 0
	global_load_dwordx4 v[103:106], v[103:104], off offset:16
	v_add_co_u32_e32 v125, vcc, s0, v68
	v_fma_f64 v[172:173], v[126:127], v[134:135], -v[109:110]
	v_add_f64 v[42:43], v[122:123], v[156:157]
	v_fma_f64 v[156:157], v[44:45], v[126:127], v[107:108]
	v_addc_co_u32_e32 v126, vcc, 0, v69, vcc
	v_add_co_u32_e32 v68, vcc, s14, v68
	v_addc_co_u32_e32 v69, vcc, 0, v69, vcc
	global_load_dwordx4 v[107:110], v[68:69], off offset:960
	s_nop 0
	global_load_dwordx4 v[125:128], v[125:126], off offset:16
	s_waitcnt vmcnt(8)
	v_mul_f64 v[154:155], v[40:41], v[132:133]
	v_fma_f64 v[62:63], v[166:167], s[6:7], v[74:75]
	v_fma_f64 v[66:67], v[166:167], s[8:9], v[74:75]
	v_add_f64 v[74:75], v[136:137], v[140:141]
	v_mul_f64 v[44:45], v[138:139], v[132:133]
	v_fma_f64 v[168:169], v[60:61], -0.5, v[72:73]
	v_add_f64 v[122:123], v[46:47], v[170:171]
	v_add_f64 v[72:73], v[72:73], v[158:159]
	v_fma_f64 v[154:155], v[130:131], v[138:139], -v[154:155]
	v_add_f64 v[68:69], v[46:47], -v[170:171]
	s_mov_b32 s0, 0xc22e4507
	v_fma_f64 v[158:159], v[40:41], v[130:131], v[44:45]
	v_fma_f64 v[44:45], v[74:75], -0.5, v[150:151]
	v_add_f64 v[74:75], v[150:151], v[136:137]
	v_fma_f64 v[60:61], v[152:153], s[8:9], v[168:169]
	v_fma_f64 v[64:65], v[152:153], s[6:7], v[168:169]
	v_add_f64 v[152:153], v[172:173], v[154:155]
	v_fma_f64 v[122:123], v[122:123], -0.5, v[70:71]
	v_add_f64 v[129:130], v[136:137], -v[140:141]
	v_add_f64 v[131:132], v[70:71], v[46:47]
	v_fma_f64 v[46:47], v[68:69], s[6:7], v[44:45]
	v_add_f64 v[74:75], v[74:75], v[140:141]
	ds_read2_b64 v[133:136], v95 offset0:84 offset1:219
	ds_read2_b64 v[137:140], v96 offset0:26 offset1:161
	v_fma_f64 v[70:71], v[68:69], s[8:9], v[44:45]
	v_fma_f64 v[150:151], v[152:153], -0.5, v[90:91]
	v_add_f64 v[152:153], v[156:157], -v[158:159]
	v_fma_f64 v[44:45], v[129:130], s[8:9], v[122:123]
	v_fma_f64 v[68:69], v[129:130], s[6:7], v[122:123]
	v_add_f64 v[122:123], v[156:157], v[158:159]
	v_add_f64 v[40:41], v[72:73], v[160:161]
	s_waitcnt vmcnt(7)
	v_mul_f64 v[95:96], v[34:35], v[113:114]
	s_waitcnt vmcnt(6)
	v_mul_f64 v[129:130], v[38:39], v[117:118]
	s_waitcnt lgkmcnt(0)
	v_mul_f64 v[117:118], v[139:140], v[117:118]
	v_mul_f64 v[113:114], v[135:136], v[113:114]
	v_add_f64 v[72:73], v[131:132], v[170:171]
	v_fma_f64 v[131:132], v[152:153], s[6:7], v[150:151]
	v_fma_f64 v[152:153], v[152:153], s[8:9], v[150:151]
	v_add_f64 v[90:91], v[90:91], v[172:173]
	v_fma_f64 v[122:123], v[122:123], -0.5, v[84:85]
	v_add_f64 v[150:151], v[172:173], -v[154:155]
	v_fma_f64 v[95:96], v[111:112], v[135:136], -v[95:96]
	v_fma_f64 v[135:136], v[115:116], v[139:140], -v[129:130]
	v_fma_f64 v[115:116], v[38:39], v[115:116], v[117:118]
	s_waitcnt vmcnt(5)
	v_mul_f64 v[38:39], v[32:33], v[144:145]
	s_waitcnt vmcnt(4)
	v_mul_f64 v[117:118], v[36:37], v[148:149]
	v_add_f64 v[84:85], v[84:85], v[156:157]
	v_fma_f64 v[34:35], v[34:35], v[111:112], v[113:114]
	v_add_f64 v[113:114], v[90:91], v[154:155]
	v_fma_f64 v[129:130], v[150:151], s[8:9], v[122:123]
	;; [unrolled: 2-line block ×3, first 2 shown]
	v_fma_f64 v[122:123], v[142:143], v[133:134], -v[38:39]
	v_fma_f64 v[154:155], v[146:147], v[137:138], -v[117:118]
	v_mul_f64 v[38:39], v[133:134], v[144:145]
	v_mul_f64 v[117:118], v[137:138], v[148:149]
	v_add_f64 v[111:112], v[84:85], v[158:159]
	v_add_f64 v[84:85], v[34:35], v[115:116]
	v_fma_f64 v[90:91], v[90:91], -0.5, v[162:163]
	v_add_f64 v[133:134], v[34:35], -v[115:116]
	v_add_f64 v[137:138], v[162:163], v[95:96]
	v_add_f64 v[144:145], v[122:123], v[154:155]
	v_fma_f64 v[141:142], v[32:33], v[142:143], v[38:39]
	v_fma_f64 v[146:147], v[36:37], v[146:147], v[117:118]
	v_add_u32_e32 v32, v89, v102
	v_fma_f64 v[139:140], v[84:85], -0.5, v[82:83]
	v_add_f64 v[95:96], v[95:96], -v[135:136]
	ds_read_b64 v[117:118], v32
	v_add_f64 v[82:83], v[82:83], v[34:35]
	v_fma_f64 v[34:35], v[133:134], s[6:7], v[90:91]
	v_fma_f64 v[38:39], v[133:134], s[8:9], v[90:91]
	v_add_f64 v[84:85], v[137:138], v[135:136]
	s_waitcnt lgkmcnt(0)
	v_fma_f64 v[133:134], v[144:145], -0.5, v[117:118]
	v_add_f64 v[135:136], v[141:142], -v[146:147]
	v_add_f64 v[143:144], v[141:142], v[146:147]
	s_waitcnt vmcnt(3)
	v_mul_f64 v[148:149], v[26:27], v[99:100]
	s_waitcnt vmcnt(2)
	v_mul_f64 v[156:157], v[30:31], v[105:106]
	v_fma_f64 v[32:33], v[95:96], s[8:9], v[139:140]
	v_fma_f64 v[36:37], v[95:96], s[6:7], v[139:140]
	v_add_f64 v[82:83], v[82:83], v[115:116]
	v_add_f64 v[137:138], v[117:118], v[122:123]
	ds_read2_b64 v[115:118], v93 offset0:70 offset1:205
	ds_read2_b64 v[92:95], v94 offset0:12 offset1:147
	v_fma_f64 v[90:91], v[135:136], s[6:7], v[133:134]
	v_fma_f64 v[135:136], v[135:136], s[8:9], v[133:134]
	v_fma_f64 v[133:134], v[143:144], -0.5, v[80:81]
	s_waitcnt lgkmcnt(1)
	v_fma_f64 v[143:144], v[97:98], v[117:118], -v[148:149]
	s_waitcnt lgkmcnt(0)
	v_fma_f64 v[148:149], v[103:104], v[94:95], -v[156:157]
	v_mul_f64 v[99:100], v[117:118], v[99:100]
	v_mul_f64 v[94:95], v[94:95], v[105:106]
	s_waitcnt vmcnt(1)
	v_mul_f64 v[105:106], v[24:25], v[109:110]
	s_waitcnt vmcnt(0)
	v_mul_f64 v[117:118], v[28:29], v[127:128]
	v_add_f64 v[139:140], v[137:138], v[154:155]
	ds_read_b64 v[101:102], v88
	v_add_f64 v[80:81], v[80:81], v[141:142]
	v_add_f64 v[137:138], v[143:144], v[148:149]
	v_fma_f64 v[26:27], v[26:27], v[97:98], v[99:100]
	v_fma_f64 v[30:31], v[30:31], v[103:104], v[94:95]
	v_fma_f64 v[96:97], v[107:108], v[115:116], -v[105:106]
	v_fma_f64 v[104:105], v[125:126], v[92:93], -v[117:118]
	v_mul_f64 v[94:95], v[115:116], v[109:110]
	v_mul_f64 v[92:93], v[92:93], v[127:128]
	v_add_f64 v[122:123], v[122:123], -v[154:155]
	s_waitcnt lgkmcnt(0)
	v_fma_f64 v[109:110], v[137:138], -0.5, v[101:102]
	v_add_f64 v[137:138], v[80:81], v[146:147]
	v_add_f64 v[98:99], v[26:27], v[30:31]
	;; [unrolled: 1-line block ×3, first 2 shown]
	v_fma_f64 v[24:25], v[24:25], v[107:108], v[94:95]
	v_fma_f64 v[117:118], v[28:29], v[125:126], v[92:93]
	v_add_f64 v[92:93], v[26:27], -v[30:31]
	v_add_f64 v[94:95], v[101:102], v[143:144]
	v_add_f64 v[102:103], v[78:79], v[26:27]
	v_fma_f64 v[98:99], v[98:99], -0.5, v[78:79]
	v_add_f64 v[100:101], v[143:144], -v[148:149]
	v_fma_f64 v[106:107], v[115:116], -0.5, v[164:165]
	v_fma_f64 v[88:89], v[122:123], s[8:9], v[133:134]
	v_add_f64 v[115:116], v[24:25], -v[117:118]
	v_fma_f64 v[28:29], v[92:93], s[6:7], v[109:110]
	v_fma_f64 v[80:81], v[92:93], s[8:9], v[109:110]
	v_add_f64 v[108:109], v[24:25], v[117:118]
	v_add_f64 v[92:93], v[102:103], v[30:31]
	v_mul_hi_u32 v102, v124, s0
	v_add_f64 v[30:31], v[164:165], v[96:97]
	v_fma_f64 v[26:27], v[100:101], s[8:9], v[98:99]
	v_fma_f64 v[78:79], v[100:101], s[6:7], v[98:99]
	v_add_f64 v[24:25], v[76:77], v[24:25]
	v_fma_f64 v[133:134], v[122:123], s[6:7], v[133:134]
	v_fma_f64 v[100:101], v[108:109], -0.5, v[76:77]
	v_add_f64 v[108:109], v[96:97], -v[104:105]
	v_lshrrev_b32_e32 v96, 10, v102
	v_mul_u32_u24_e32 v96, 0x546, v96
	v_sub_u32_e32 v110, v124, v96
	v_mad_u64_u32 v[122:123], s[4:5], s2, v110, 0
	v_fma_f64 v[98:99], v[115:116], s[6:7], v[106:107]
	v_fma_f64 v[102:103], v[115:116], s[8:9], v[106:107]
	v_add_f64 v[106:107], v[30:31], v[104:105]
	v_mov_b32_e32 v30, v123
	v_mad_u64_u32 v[30:31], s[4:5], s3, v110, v[30:31]
	v_add_f64 v[104:105], v[24:25], v[117:118]
	v_lshlrev_b64 v[24:25], 4, v[86:87]
	v_mov_b32_e32 v123, v30
	v_mov_b32_e32 v30, s11
	v_add_co_u32_e32 v76, vcc, s10, v24
	v_add_u32_e32 v86, 0x546, v110
	v_addc_co_u32_e32 v77, vcc, v30, v25, vcc
	v_mad_u64_u32 v[30:31], s[4:5], s2, v86, 0
	v_lshlrev_b64 v[24:25], 4, v[120:121]
	v_fma_f64 v[96:97], v[108:109], s[8:9], v[100:101]
	v_add_co_u32_e32 v24, vcc, v76, v24
	v_mad_u64_u32 v[86:87], s[4:5], s3, v86, v[31:32]
	v_addc_co_u32_e32 v25, vcc, v77, v25, vcc
	v_lshlrev_b64 v[76:77], 4, v[122:123]
	v_mov_b32_e32 v31, v86
	v_add_co_u32_e32 v76, vcc, v24, v76
	v_addc_co_u32_e32 v77, vcc, v25, v77, vcc
	v_add_u32_e32 v86, 0xa8c, v110
	global_store_dwordx4 v[76:77], v[104:107], off
	v_mad_u64_u32 v[76:77], s[4:5], s2, v86, 0
	v_fma_f64 v[100:101], v[108:109], s[6:7], v[100:101]
	v_lshlrev_b64 v[30:31], 4, v[30:31]
	v_mad_u64_u32 v[86:87], s[4:5], s3, v86, v[77:78]
	v_add_u32_e32 v87, 0x87, v124
	v_mul_hi_u32 v104, v87, s0
	v_add_co_u32_e32 v30, vcc, v24, v30
	v_addc_co_u32_e32 v31, vcc, v25, v31, vcc
	v_mov_b32_e32 v77, v86
	global_store_dwordx4 v[30:31], v[100:103], off
	v_lshlrev_b64 v[30:31], 4, v[76:77]
	v_lshrrev_b32_e32 v76, 10, v104
	v_mul_u32_u24_e32 v77, 0x546, v76
	v_sub_u32_e32 v77, v87, v77
	v_mad_u32_u24 v102, v76, s1, v77
	v_mad_u64_u32 v[76:77], s[4:5], s2, v102, 0
	v_add_co_u32_e32 v30, vcc, v24, v30
	v_mad_u64_u32 v[86:87], s[4:5], s3, v102, v[77:78]
	v_add_u32_e32 v87, 0x546, v102
	v_mad_u64_u32 v[100:101], s[4:5], s2, v87, 0
	v_addc_co_u32_e32 v31, vcc, v25, v31, vcc
	v_mov_b32_e32 v77, v86
	global_store_dwordx4 v[30:31], v[96:99], off
	v_lshlrev_b64 v[30:31], 4, v[76:77]
	v_mov_b32_e32 v76, v101
	v_mad_u64_u32 v[76:77], s[4:5], s3, v87, v[76:77]
	v_add_f64 v[94:95], v[94:95], v[148:149]
	v_add_u32_e32 v86, 0xa8c, v102
	v_mov_b32_e32 v101, v76
	v_mad_u64_u32 v[76:77], s[4:5], s2, v86, 0
	v_add_co_u32_e32 v30, vcc, v24, v30
	v_mad_u64_u32 v[86:87], s[4:5], s3, v86, v[77:78]
	v_addc_co_u32_e32 v31, vcc, v25, v31, vcc
	v_add_u32_e32 v87, 0x10e, v124
	global_store_dwordx4 v[30:31], v[92:95], off
	v_lshlrev_b64 v[30:31], 4, v[100:101]
	v_mul_hi_u32 v92, v87, s0
	v_add_co_u32_e32 v30, vcc, v24, v30
	v_addc_co_u32_e32 v31, vcc, v25, v31, vcc
	v_mov_b32_e32 v77, v86
	global_store_dwordx4 v[30:31], v[78:81], off
	v_lshlrev_b64 v[30:31], 4, v[76:77]
	v_lshrrev_b32_e32 v76, 10, v92
	v_mul_u32_u24_e32 v77, 0x546, v76
	v_sub_u32_e32 v77, v87, v77
	v_mad_u32_u24 v80, v76, s1, v77
	v_mad_u64_u32 v[76:77], s[4:5], s2, v80, 0
	v_add_u32_e32 v81, 0x546, v80
	v_add_co_u32_e32 v30, vcc, v24, v30
	v_mad_u64_u32 v[77:78], s[4:5], s3, v80, v[77:78]
	v_mad_u64_u32 v[78:79], s[4:5], s2, v81, 0
	v_addc_co_u32_e32 v31, vcc, v25, v31, vcc
	global_store_dwordx4 v[30:31], v[26:29], off
	v_add_u32_e32 v30, 0xa8c, v80
	v_mov_b32_e32 v28, v79
	v_mad_u64_u32 v[28:29], s[4:5], s3, v81, v[28:29]
	v_lshlrev_b64 v[26:27], 4, v[76:77]
	v_mov_b32_e32 v79, v28
	v_mad_u64_u32 v[28:29], s[4:5], s2, v30, 0
	v_add_co_u32_e32 v26, vcc, v24, v26
	v_mad_u64_u32 v[29:30], s[4:5], s3, v30, v[29:30]
	v_addc_co_u32_e32 v27, vcc, v25, v27, vcc
	v_add_u32_e32 v30, 0x195, v124
	global_store_dwordx4 v[26:27], v[137:140], off
	v_lshlrev_b64 v[26:27], 4, v[78:79]
	v_mul_hi_u32 v31, v30, s0
	v_add_co_u32_e32 v26, vcc, v24, v26
	v_addc_co_u32_e32 v27, vcc, v25, v27, vcc
	global_store_dwordx4 v[26:27], v[133:136], off
	v_lshlrev_b64 v[26:27], 4, v[28:29]
	v_lshrrev_b32_e32 v28, 10, v31
	v_mul_u32_u24_e32 v29, 0x546, v28
	v_sub_u32_e32 v29, v30, v29
	v_mad_u32_u24 v76, v28, s1, v29
	v_mad_u64_u32 v[28:29], s[4:5], s2, v76, 0
	v_add_u32_e32 v77, 0x546, v76
	v_add_co_u32_e32 v26, vcc, v24, v26
	v_mad_u64_u32 v[29:30], s[4:5], s3, v76, v[29:30]
	v_mad_u64_u32 v[30:31], s[4:5], s2, v77, 0
	v_addc_co_u32_e32 v27, vcc, v25, v27, vcc
	global_store_dwordx4 v[26:27], v[88:91], off
	v_lshlrev_b64 v[26:27], 4, v[28:29]
	v_mov_b32_e32 v28, v31
	v_mad_u64_u32 v[28:29], s[4:5], s3, v77, v[28:29]
	v_add_co_u32_e32 v26, vcc, v24, v26
	v_addc_co_u32_e32 v27, vcc, v25, v27, vcc
	v_mov_b32_e32 v31, v28
	global_store_dwordx4 v[26:27], v[82:85], off
	v_lshlrev_b64 v[26:27], 4, v[30:31]
	v_add_u32_e32 v30, 0xa8c, v76
	v_mad_u64_u32 v[28:29], s[4:5], s2, v30, 0
	v_add_co_u32_e32 v26, vcc, v24, v26
	v_mad_u64_u32 v[29:30], s[4:5], s3, v30, v[29:30]
	v_add_u32_e32 v30, 0x21c, v124
	v_mul_hi_u32 v31, v30, s0
	v_addc_co_u32_e32 v27, vcc, v25, v27, vcc
	global_store_dwordx4 v[26:27], v[36:39], off
	v_lshlrev_b64 v[26:27], 4, v[28:29]
	v_lshrrev_b32_e32 v28, 10, v31
	v_mul_u32_u24_e32 v29, 0x546, v28
	v_sub_u32_e32 v29, v30, v29
	v_mad_u32_u24 v36, v28, s1, v29
	v_mad_u64_u32 v[28:29], s[4:5], s2, v36, 0
	v_add_u32_e32 v37, 0x546, v36
	v_add_co_u32_e32 v26, vcc, v24, v26
	v_mad_u64_u32 v[29:30], s[4:5], s3, v36, v[29:30]
	v_mad_u64_u32 v[30:31], s[4:5], s2, v37, 0
	v_addc_co_u32_e32 v27, vcc, v25, v27, vcc
	global_store_dwordx4 v[26:27], v[32:35], off
	v_lshlrev_b64 v[26:27], 4, v[28:29]
	v_mov_b32_e32 v28, v31
	v_mad_u64_u32 v[28:29], s[4:5], s3, v37, v[28:29]
	v_add_co_u32_e32 v26, vcc, v24, v26
	v_addc_co_u32_e32 v27, vcc, v25, v27, vcc
	v_mov_b32_e32 v31, v28
	global_store_dwordx4 v[26:27], v[111:114], off
	v_lshlrev_b64 v[26:27], 4, v[30:31]
	v_add_u32_e32 v30, 0xa8c, v36
	v_mad_u64_u32 v[28:29], s[4:5], s2, v30, 0
	v_add_co_u32_e32 v26, vcc, v24, v26
	v_mad_u64_u32 v[29:30], s[4:5], s3, v30, v[29:30]
	v_add_u32_e32 v30, 0x2a3, v124
	v_mul_hi_u32 v31, v30, s0
	;; [unrolled: 28-line block ×5, first 2 shown]
	v_addc_co_u32_e32 v27, vcc, v25, v27, vcc
	global_store_dwordx4 v[26:27], v[52:55], off
	v_lshlrev_b64 v[26:27], 4, v[28:29]
	v_lshrrev_b32_e32 v28, 10, v31
	v_mul_u32_u24_e32 v29, 0x546, v28
	v_sub_u32_e32 v29, v30, v29
	v_mad_u32_u24 v32, v28, s1, v29
	v_mad_u64_u32 v[28:29], s[4:5], s2, v32, 0
	v_add_u32_e32 v33, 0x546, v32
	v_add_co_u32_e32 v26, vcc, v24, v26
	v_mad_u64_u32 v[29:30], s[4:5], s3, v32, v[29:30]
	v_mad_u64_u32 v[30:31], s[4:5], s2, v33, 0
	v_addc_co_u32_e32 v27, vcc, v25, v27, vcc
	global_store_dwordx4 v[26:27], v[48:51], off
	v_lshlrev_b64 v[26:27], 4, v[28:29]
	v_mov_b32_e32 v28, v31
	v_mad_u64_u32 v[28:29], s[4:5], s3, v33, v[28:29]
	v_add_co_u32_e32 v26, vcc, v24, v26
	v_addc_co_u32_e32 v27, vcc, v25, v27, vcc
	global_store_dwordx4 v[26:27], v[20:23], off
	v_add_u32_e32 v26, 0xa8c, v32
	v_mov_b32_e32 v31, v28
	v_mad_u64_u32 v[22:23], s[4:5], s2, v26, 0
	v_add_u32_e32 v28, 0x4bf, v124
	v_mul_hi_u32 v29, v28, s0
	v_mad_u64_u32 v[26:27], s[4:5], s3, v26, v[23:24]
	v_lshlrev_b64 v[20:21], 4, v[30:31]
	v_lshrrev_b32_e32 v23, 10, v29
	v_mul_u32_u24_e32 v27, 0x546, v23
	v_add_co_u32_e32 v20, vcc, v24, v20
	v_sub_u32_e32 v27, v28, v27
	v_addc_co_u32_e32 v21, vcc, v25, v21, vcc
	v_mad_u32_u24 v29, v23, s1, v27
	v_mov_b32_e32 v23, v26
	v_mad_u64_u32 v[27:28], s[0:1], s2, v29, 0
	global_store_dwordx4 v[20:21], v[16:19], off
	s_nop 0
	v_lshlrev_b64 v[16:17], 4, v[22:23]
	v_mov_b32_e32 v18, v28
	v_add_co_u32_e32 v16, vcc, v24, v16
	v_addc_co_u32_e32 v17, vcc, v25, v17, vcc
	global_store_dwordx4 v[16:17], v[12:15], off
	v_add_u32_e32 v16, 0x546, v29
	v_mad_u64_u32 v[18:19], s[0:1], s3, v29, v[18:19]
	v_mad_u64_u32 v[14:15], s[0:1], s2, v16, 0
	v_mov_b32_e32 v28, v18
	v_add_u32_e32 v18, 0xa8c, v29
	v_mad_u64_u32 v[15:16], s[0:1], s3, v16, v[15:16]
	v_lshlrev_b64 v[12:13], 4, v[27:28]
	v_mad_u64_u32 v[16:17], s[0:1], s2, v18, 0
	v_add_co_u32_e32 v12, vcc, v24, v12
	v_addc_co_u32_e32 v13, vcc, v25, v13, vcc
	global_store_dwordx4 v[12:13], v[8:11], off
	s_nop 0
	v_mov_b32_e32 v10, v17
	v_mad_u64_u32 v[10:11], s[0:1], s3, v18, v[10:11]
	v_lshlrev_b64 v[8:9], 4, v[14:15]
	v_add_co_u32_e32 v8, vcc, v24, v8
	v_addc_co_u32_e32 v9, vcc, v25, v9, vcc
	v_mov_b32_e32 v17, v10
	global_store_dwordx4 v[8:9], v[4:7], off
	s_nop 0
	v_lshlrev_b64 v[4:5], 4, v[16:17]
	v_add_co_u32_e32 v4, vcc, v24, v4
	v_addc_co_u32_e32 v5, vcc, v25, v5, vcc
	global_store_dwordx4 v[4:5], v[0:3], off
.LBB0_15:
	s_endpgm
	.section	.rodata,"a",@progbits
	.p2align	6, 0x0
	.amdhsa_kernel fft_rtc_back_len4050_factors_10_5_3_3_3_3_wgs_135_tpt_135_halfLds_dp_op_CI_CI_sbrr_dirReg
		.amdhsa_group_segment_fixed_size 0
		.amdhsa_private_segment_fixed_size 0
		.amdhsa_kernarg_size 104
		.amdhsa_user_sgpr_count 6
		.amdhsa_user_sgpr_private_segment_buffer 1
		.amdhsa_user_sgpr_dispatch_ptr 0
		.amdhsa_user_sgpr_queue_ptr 0
		.amdhsa_user_sgpr_kernarg_segment_ptr 1
		.amdhsa_user_sgpr_dispatch_id 0
		.amdhsa_user_sgpr_flat_scratch_init 0
		.amdhsa_user_sgpr_private_segment_size 0
		.amdhsa_uses_dynamic_stack 0
		.amdhsa_system_sgpr_private_segment_wavefront_offset 0
		.amdhsa_system_sgpr_workgroup_id_x 1
		.amdhsa_system_sgpr_workgroup_id_y 0
		.amdhsa_system_sgpr_workgroup_id_z 0
		.amdhsa_system_sgpr_workgroup_info 0
		.amdhsa_system_vgpr_workitem_id 0
		.amdhsa_next_free_vgpr 250
		.amdhsa_next_free_sgpr 32
		.amdhsa_reserve_vcc 1
		.amdhsa_reserve_flat_scratch 0
		.amdhsa_float_round_mode_32 0
		.amdhsa_float_round_mode_16_64 0
		.amdhsa_float_denorm_mode_32 3
		.amdhsa_float_denorm_mode_16_64 3
		.amdhsa_dx10_clamp 1
		.amdhsa_ieee_mode 1
		.amdhsa_fp16_overflow 0
		.amdhsa_exception_fp_ieee_invalid_op 0
		.amdhsa_exception_fp_denorm_src 0
		.amdhsa_exception_fp_ieee_div_zero 0
		.amdhsa_exception_fp_ieee_overflow 0
		.amdhsa_exception_fp_ieee_underflow 0
		.amdhsa_exception_fp_ieee_inexact 0
		.amdhsa_exception_int_div_zero 0
	.end_amdhsa_kernel
	.text
.Lfunc_end0:
	.size	fft_rtc_back_len4050_factors_10_5_3_3_3_3_wgs_135_tpt_135_halfLds_dp_op_CI_CI_sbrr_dirReg, .Lfunc_end0-fft_rtc_back_len4050_factors_10_5_3_3_3_3_wgs_135_tpt_135_halfLds_dp_op_CI_CI_sbrr_dirReg
                                        ; -- End function
	.section	.AMDGPU.csdata,"",@progbits
; Kernel info:
; codeLenInByte = 26744
; NumSgprs: 36
; NumVgprs: 250
; ScratchSize: 0
; MemoryBound: 1
; FloatMode: 240
; IeeeMode: 1
; LDSByteSize: 0 bytes/workgroup (compile time only)
; SGPRBlocks: 4
; VGPRBlocks: 62
; NumSGPRsForWavesPerEU: 36
; NumVGPRsForWavesPerEU: 250
; Occupancy: 1
; WaveLimiterHint : 1
; COMPUTE_PGM_RSRC2:SCRATCH_EN: 0
; COMPUTE_PGM_RSRC2:USER_SGPR: 6
; COMPUTE_PGM_RSRC2:TRAP_HANDLER: 0
; COMPUTE_PGM_RSRC2:TGID_X_EN: 1
; COMPUTE_PGM_RSRC2:TGID_Y_EN: 0
; COMPUTE_PGM_RSRC2:TGID_Z_EN: 0
; COMPUTE_PGM_RSRC2:TIDIG_COMP_CNT: 0
	.type	__hip_cuid_25604a4ac9c8dd88,@object ; @__hip_cuid_25604a4ac9c8dd88
	.section	.bss,"aw",@nobits
	.globl	__hip_cuid_25604a4ac9c8dd88
__hip_cuid_25604a4ac9c8dd88:
	.byte	0                               ; 0x0
	.size	__hip_cuid_25604a4ac9c8dd88, 1

	.ident	"AMD clang version 19.0.0git (https://github.com/RadeonOpenCompute/llvm-project roc-6.4.0 25133 c7fe45cf4b819c5991fe208aaa96edf142730f1d)"
	.section	".note.GNU-stack","",@progbits
	.addrsig
	.addrsig_sym __hip_cuid_25604a4ac9c8dd88
	.amdgpu_metadata
---
amdhsa.kernels:
  - .args:
      - .actual_access:  read_only
        .address_space:  global
        .offset:         0
        .size:           8
        .value_kind:     global_buffer
      - .offset:         8
        .size:           8
        .value_kind:     by_value
      - .actual_access:  read_only
        .address_space:  global
        .offset:         16
        .size:           8
        .value_kind:     global_buffer
      - .actual_access:  read_only
        .address_space:  global
        .offset:         24
        .size:           8
        .value_kind:     global_buffer
      - .actual_access:  read_only
        .address_space:  global
        .offset:         32
        .size:           8
        .value_kind:     global_buffer
      - .offset:         40
        .size:           8
        .value_kind:     by_value
      - .actual_access:  read_only
        .address_space:  global
        .offset:         48
        .size:           8
        .value_kind:     global_buffer
      - .actual_access:  read_only
        .address_space:  global
        .offset:         56
        .size:           8
        .value_kind:     global_buffer
      - .offset:         64
        .size:           4
        .value_kind:     by_value
      - .actual_access:  read_only
        .address_space:  global
        .offset:         72
        .size:           8
        .value_kind:     global_buffer
      - .actual_access:  read_only
        .address_space:  global
        .offset:         80
        .size:           8
        .value_kind:     global_buffer
      - .actual_access:  read_only
        .address_space:  global
        .offset:         88
        .size:           8
        .value_kind:     global_buffer
      - .actual_access:  write_only
        .address_space:  global
        .offset:         96
        .size:           8
        .value_kind:     global_buffer
    .group_segment_fixed_size: 0
    .kernarg_segment_align: 8
    .kernarg_segment_size: 104
    .language:       OpenCL C
    .language_version:
      - 2
      - 0
    .max_flat_workgroup_size: 135
    .name:           fft_rtc_back_len4050_factors_10_5_3_3_3_3_wgs_135_tpt_135_halfLds_dp_op_CI_CI_sbrr_dirReg
    .private_segment_fixed_size: 0
    .sgpr_count:     36
    .sgpr_spill_count: 0
    .symbol:         fft_rtc_back_len4050_factors_10_5_3_3_3_3_wgs_135_tpt_135_halfLds_dp_op_CI_CI_sbrr_dirReg.kd
    .uniform_work_group_size: 1
    .uses_dynamic_stack: false
    .vgpr_count:     250
    .vgpr_spill_count: 0
    .wavefront_size: 64
amdhsa.target:   amdgcn-amd-amdhsa--gfx906
amdhsa.version:
  - 1
  - 2
...

	.end_amdgpu_metadata
